;; amdgpu-corpus repo=ROCm/rocFFT kind=compiled arch=gfx906 opt=O3
	.text
	.amdgcn_target "amdgcn-amd-amdhsa--gfx906"
	.amdhsa_code_object_version 6
	.protected	bluestein_single_back_len4050_dim1_half_op_CI_CI ; -- Begin function bluestein_single_back_len4050_dim1_half_op_CI_CI
	.globl	bluestein_single_back_len4050_dim1_half_op_CI_CI
	.p2align	8
	.type	bluestein_single_back_len4050_dim1_half_op_CI_CI,@function
bluestein_single_back_len4050_dim1_half_op_CI_CI: ; @bluestein_single_back_len4050_dim1_half_op_CI_CI
; %bb.0:
	s_load_dwordx4 s[16:19], s[4:5], 0x28
	v_mul_u32_u24_e32 v1, 0x1e6, v0
	v_add_u32_sdwa v24, s6, v1 dst_sel:DWORD dst_unused:UNUSED_PAD src0_sel:DWORD src1_sel:WORD_1
	v_mov_b32_e32 v25, 0
	s_waitcnt lgkmcnt(0)
	v_cmp_gt_u64_e32 vcc, s[16:17], v[24:25]
	s_and_saveexec_b64 s[0:1], vcc
	s_cbranch_execz .LBB0_2
; %bb.1:
	s_load_dwordx4 s[8:11], s[4:5], 0x18
	s_load_dwordx4 s[0:3], s[4:5], 0x0
	s_movk_i32 s17, 0x87
	v_mul_lo_u16_sdwa v1, v1, s17 dst_sel:DWORD dst_unused:UNUSED_PAD src0_sel:WORD_1 src1_sel:DWORD
	v_sub_u16_e32 v145, v0, v1
	s_waitcnt lgkmcnt(0)
	s_load_dwordx4 s[12:15], s[8:9], 0x0
	v_lshlrev_b32_e32 v149, 2, v145
	global_load_dword v147, v149, s[0:1]
	s_movk_i32 s16, 0x1000
	v_mov_b32_e32 v119, 0xffffc928
	s_waitcnt lgkmcnt(0)
	v_mad_u64_u32 v[0:1], s[6:7], s14, v24, 0
	v_mad_u64_u32 v[2:3], s[6:7], s12, v145, 0
	v_add_u32_e32 v135, 0x800, v149
	v_add_u32_e32 v161, 0xe00, v149
	v_mad_u64_u32 v[4:5], s[6:7], s15, v24, v[1:2]
	v_add_u32_e32 v133, 0x1400, v149
	v_add_u32_e32 v156, 0x1a00, v149
	v_mad_u64_u32 v[5:6], s[6:7], s13, v145, v[3:4]
	v_mov_b32_e32 v1, v4
	v_lshlrev_b64 v[0:1], 2, v[0:1]
	v_mov_b32_e32 v6, s19
	v_mov_b32_e32 v3, v5
	v_add_co_u32_e32 v4, vcc, s18, v0
	v_addc_co_u32_e32 v5, vcc, v6, v1, vcc
	v_lshlrev_b64 v[0:1], 2, v[2:3]
	s_mul_i32 s6, s13, 0x654
	v_add_co_u32_e32 v0, vcc, v4, v0
	s_mul_hi_u32 s7, s12, 0x654
	v_addc_co_u32_e32 v1, vcc, v5, v1, vcc
	s_add_i32 s6, s7, s6
	s_mul_i32 s7, s12, 0x654
	global_load_dword v4, v[0:1], off
	v_mov_b32_e32 v2, s6
	v_add_co_u32_e32 v0, vcc, s7, v0
	v_addc_co_u32_e32 v1, vcc, v1, v2, vcc
	global_load_dword v5, v[0:1], off
	global_load_dword v144, v149, s[0:1] offset:1620
	v_add_co_u32_e32 v0, vcc, s7, v0
	v_addc_co_u32_e32 v1, vcc, v1, v2, vcc
	global_load_dword v6, v[0:1], off
	global_load_dword v142, v149, s[0:1] offset:3240
	v_add_co_u32_e32 v0, vcc, s7, v0
	v_addc_co_u32_e32 v1, vcc, v1, v2, vcc
	v_mov_b32_e32 v2, s1
	v_add_co_u32_e32 v107, vcc, s0, v149
	v_addc_co_u32_e32 v108, vcc, 0, v2, vcc
	v_add_co_u32_e32 v2, vcc, s16, v107
	global_load_dword v7, v[0:1], off
	v_addc_co_u32_e32 v3, vcc, 0, v108, vcc
	global_load_dword v140, v[2:3], off offset:764
	v_mov_b32_e32 v8, s6
	v_add_co_u32_e32 v0, vcc, s7, v0
	v_addc_co_u32_e32 v1, vcc, v1, v8, vcc
	global_load_dword v8, v[0:1], off
	global_load_dword v137, v[2:3], off offset:2384
	v_mov_b32_e32 v9, s6
	v_add_co_u32_e32 v0, vcc, s7, v0
	v_addc_co_u32_e32 v1, vcc, v1, v9, vcc
	global_load_dword v9, v[0:1], off
	s_load_dwordx4 s[8:11], s[10:11], 0x0
	global_load_dword v131, v149, s[0:1] offset:540
	global_load_dword v130, v149, s[0:1] offset:2160
	;; [unrolled: 1-line block ×5, first 2 shown]
	global_load_dword v141, v[2:3], off offset:4004
	v_mov_b32_e32 v10, s6
	v_add_co_u32_e32 v0, vcc, s7, v0
	v_addc_co_u32_e32 v1, vcc, v1, v10, vcc
	s_movk_i32 s0, 0x2000
	global_load_dword v10, v[0:1], off
	v_mov_b32_e32 v16, s6
	v_mov_b32_e32 v18, s6
	;; [unrolled: 1-line block ×5, first 2 shown]
	v_add_u32_e32 v132, 0x2000, v149
	v_add_u32_e32 v162, 0x2800, v149
	;; [unrolled: 1-line block ×14, first 2 shown]
	s_movk_i32 s15, 0x3a79
	s_movk_i32 s14, 0x195
	;; [unrolled: 1-line block ×3, first 2 shown]
	v_mov_b32_e32 v103, s3
	s_load_dwordx2 s[4:5], s[4:5], 0x38
	s_waitcnt vmcnt(16)
	v_lshrrev_b32_e32 v11, 16, v4
	v_mul_f16_sdwa v12, v147, v4 dst_sel:DWORD dst_unused:UNUSED_PAD src0_sel:WORD_1 src1_sel:DWORD
	v_mul_f16_sdwa v13, v147, v11 dst_sel:DWORD dst_unused:UNUSED_PAD src0_sel:WORD_1 src1_sel:DWORD
	v_fma_f16 v11, v147, v11, -v12
	v_fma_f16 v4, v147, v4, v13
	s_waitcnt vmcnt(15)
	v_lshrrev_b32_e32 v12, 16, v5
	s_waitcnt vmcnt(14)
	v_mul_f16_sdwa v14, v144, v5 dst_sel:DWORD dst_unused:UNUSED_PAD src0_sel:WORD_1 src1_sel:DWORD
	v_mul_f16_sdwa v13, v144, v12 dst_sel:DWORD dst_unused:UNUSED_PAD src0_sel:WORD_1 src1_sel:DWORD
	v_fma_f16 v12, v144, v12, -v14
	v_pack_b32_f16 v11, v4, v11
	s_waitcnt vmcnt(13)
	v_lshrrev_b32_e32 v14, 16, v6
	v_fma_f16 v4, v144, v5, v13
	s_waitcnt vmcnt(12)
	v_mul_f16_sdwa v15, v142, v6 dst_sel:DWORD dst_unused:UNUSED_PAD src0_sel:WORD_1 src1_sel:DWORD
	v_mul_f16_sdwa v5, v142, v14 dst_sel:DWORD dst_unused:UNUSED_PAD src0_sel:WORD_1 src1_sel:DWORD
	v_pack_b32_f16 v4, v4, v12
	v_fma_f16 v5, v142, v6, v5
	ds_write_b32 v149, v4 offset:1620
	v_fma_f16 v4, v142, v14, -v15
	v_pack_b32_f16 v4, v5, v4
	ds_write_b32 v149, v4 offset:3240
	v_add_co_u32_e32 v4, vcc, s0, v107
	v_addc_co_u32_e32 v5, vcc, 0, v108, vcc
	s_waitcnt vmcnt(11)
	v_lshrrev_b32_e32 v6, 16, v7
	global_load_dword v139, v[4:5], off offset:1528
	global_load_dword v128, v[2:3], off offset:1304
	;; [unrolled: 1-line block ×6, first 2 shown]
	s_waitcnt vmcnt(16)
	v_mul_f16_sdwa v2, v140, v6 dst_sel:DWORD dst_unused:UNUSED_PAD src0_sel:WORD_1 src1_sel:DWORD
	v_mul_f16_sdwa v3, v140, v7 dst_sel:DWORD dst_unused:UNUSED_PAD src0_sel:WORD_1 src1_sel:DWORD
	v_fma_f16 v2, v140, v7, v2
	v_fma_f16 v3, v140, v6, -v3
	v_pack_b32_f16 v2, v2, v3
	v_mov_b32_e32 v7, s6
	v_add_co_u32_e32 v0, vcc, s7, v0
	ds_write_b32 v149, v2 offset:4860
	v_addc_co_u32_e32 v1, vcc, v1, v7, vcc
	global_load_dword v7, v[0:1], off
	global_load_dword v138, v[4:5], off offset:3148
	s_waitcnt vmcnt(17)
	v_lshrrev_b32_e32 v2, 16, v8
	s_waitcnt vmcnt(16)
	v_mul_f16_sdwa v3, v137, v2 dst_sel:DWORD dst_unused:UNUSED_PAD src0_sel:WORD_1 src1_sel:DWORD
	v_fma_f16 v3, v137, v8, v3
	v_mul_f16_sdwa v6, v137, v8 dst_sel:DWORD dst_unused:UNUSED_PAD src0_sel:WORD_1 src1_sel:DWORD
	v_mov_b32_e32 v8, s6
	v_add_co_u32_e32 v0, vcc, s7, v0
	v_addc_co_u32_e32 v1, vcc, v1, v8, vcc
	s_movk_i32 s0, 0x3000
	v_add_co_u32_e32 v33, vcc, s0, v107
	global_load_dword v8, v[0:1], off
	v_addc_co_u32_e32 v34, vcc, 0, v108, vcc
	global_load_dword v136, v[33:34], off offset:672
	v_fma_f16 v2, v137, v2, -v6
	v_pack_b32_f16 v2, v3, v2
	v_mov_b32_e32 v3, s6
	v_add_co_u32_e32 v0, vcc, s7, v0
	ds_write_b32 v149, v2 offset:6480
	v_addc_co_u32_e32 v1, vcc, v1, v3, vcc
	global_load_dword v3, v[0:1], off
	global_load_dword v134, v[33:34], off offset:2292
	v_mad_u64_u32 v[0:1], s[0:1], s12, v119, v[0:1]
	s_mul_i32 s0, s13, 0xffffc928
	s_waitcnt vmcnt(19)
	v_lshrrev_b32_e32 v2, 16, v9
	s_sub_i32 s13, s0, s12
	s_waitcnt vmcnt(13)
	v_mul_f16_sdwa v6, v141, v2 dst_sel:DWORD dst_unused:UNUSED_PAD src0_sel:WORD_1 src1_sel:DWORD
	v_add_u32_e32 v1, s13, v1
	global_load_dword v12, v[0:1], off
	v_fma_f16 v6, v141, v9, v6
	v_mul_f16_sdwa v9, v141, v9 dst_sel:DWORD dst_unused:UNUSED_PAD src0_sel:WORD_1 src1_sel:DWORD
	v_fma_f16 v2, v141, v2, -v9
	v_pack_b32_f16 v2, v6, v2
	v_mov_b32_e32 v6, s6
	v_add_co_u32_e32 v0, vcc, s7, v0
	v_addc_co_u32_e32 v1, vcc, v1, v6, vcc
	global_load_dword v6, v[0:1], off
	v_mov_b32_e32 v9, s6
	v_add_co_u32_e32 v0, vcc, s7, v0
	v_addc_co_u32_e32 v1, vcc, v1, v9, vcc
	global_load_dword v9, v[0:1], off
	v_mov_b32_e32 v13, s6
	v_add_co_u32_e32 v0, vcc, s7, v0
	ds_write_b32 v149, v2 offset:8100
	v_addc_co_u32_e32 v1, vcc, v1, v13, vcc
	global_load_dword v13, v[0:1], off
	global_load_dword v125, v[4:5], off offset:448
	global_load_dword v123, v[4:5], off offset:2068
	;; [unrolled: 1-line block ×5, first 2 shown]
	v_mov_b32_e32 v5, s6
	v_add_co_u32_e32 v0, vcc, s7, v0
	v_addc_co_u32_e32 v1, vcc, v1, v5, vcc
	global_load_dword v5, v[0:1], off
	v_mov_b32_e32 v14, s6
	v_add_co_u32_e32 v0, vcc, s7, v0
	v_addc_co_u32_e32 v1, vcc, v1, v14, vcc
	global_load_dword v14, v[0:1], off
	s_waitcnt vmcnt(23)
	v_lshrrev_b32_e32 v2, 16, v10
	s_waitcnt vmcnt(22)
	v_mul_f16_sdwa v4, v139, v2 dst_sel:DWORD dst_unused:UNUSED_PAD src0_sel:WORD_1 src1_sel:DWORD
	v_fma_f16 v4, v139, v10, v4
	v_mul_f16_sdwa v10, v139, v10 dst_sel:DWORD dst_unused:UNUSED_PAD src0_sel:WORD_1 src1_sel:DWORD
	v_fma_f16 v2, v139, v2, -v10
	v_pack_b32_f16 v2, v4, v2
	ds_write_b32 v149, v2 offset:9720
	v_add_co_u32_e32 v0, vcc, s7, v0
	v_mov_b32_e32 v15, s6
	s_waitcnt vmcnt(16)
	v_lshrrev_b32_e32 v2, 16, v7
	s_waitcnt vmcnt(15)
	v_mul_f16_sdwa v4, v138, v2 dst_sel:DWORD dst_unused:UNUSED_PAD src0_sel:WORD_1 src1_sel:DWORD
	v_fma_f16 v4, v138, v7, v4
	v_mul_f16_sdwa v7, v138, v7 dst_sel:DWORD dst_unused:UNUSED_PAD src0_sel:WORD_1 src1_sel:DWORD
	v_fma_f16 v2, v138, v2, -v7
	v_pack_b32_f16 v2, v4, v2
	v_mov_b32_e32 v4, s6
	ds_write_b32 v149, v2 offset:11340
	v_addc_co_u32_e32 v1, vcc, v1, v4, vcc
	global_load_dword v4, v[0:1], off
	global_load_dword v121, v[33:34], off offset:1212
	global_load_dword v120, v[33:34], off offset:2832
	;; [unrolled: 1-line block ×5, first 2 shown]
	v_add_co_u32_e32 v0, vcc, s7, v0
	s_waitcnt vmcnt(20)
	v_lshrrev_b32_e32 v2, 16, v8
	s_waitcnt vmcnt(19)
	v_mul_f16_sdwa v7, v136, v2 dst_sel:DWORD dst_unused:UNUSED_PAD src0_sel:WORD_1 src1_sel:DWORD
	v_fma_f16 v7, v136, v8, v7
	v_mul_f16_sdwa v8, v136, v8 dst_sel:DWORD dst_unused:UNUSED_PAD src0_sel:WORD_1 src1_sel:DWORD
	v_fma_f16 v2, v136, v2, -v8
	v_mov_b32_e32 v8, s6
	v_addc_co_u32_e32 v1, vcc, v1, v8, vcc
	global_load_dword v8, v[0:1], off
	v_pack_b32_f16 v2, v7, v2
	ds_write_b32 v149, v2 offset:12960
	s_waitcnt vmcnt(19)
	v_lshrrev_b32_e32 v2, 16, v3
	s_waitcnt vmcnt(18)
	v_mul_f16_sdwa v7, v134, v2 dst_sel:DWORD dst_unused:UNUSED_PAD src0_sel:WORD_1 src1_sel:DWORD
	v_fma_f16 v7, v134, v3, v7
	v_mul_f16_sdwa v3, v134, v3 dst_sel:DWORD dst_unused:UNUSED_PAD src0_sel:WORD_1 src1_sel:DWORD
	v_fma_f16 v2, v134, v2, -v3
	v_pack_b32_f16 v2, v7, v2
	ds_write_b32 v149, v2 offset:14580
	s_waitcnt vmcnt(17)
	v_lshrrev_b32_e32 v2, 16, v12
	v_mul_f16_sdwa v3, v131, v2 dst_sel:DWORD dst_unused:UNUSED_PAD src0_sel:WORD_1 src1_sel:DWORD
	v_mul_f16_sdwa v7, v131, v12 dst_sel:DWORD dst_unused:UNUSED_PAD src0_sel:WORD_1 src1_sel:DWORD
	v_fma_f16 v3, v131, v12, v3
	v_fma_f16 v2, v131, v2, -v7
	v_pack_b32_f16 v2, v3, v2
	ds_write2_b32 v149, v11, v2 offset1:135
	v_add_co_u32_e32 v0, vcc, s7, v0
	v_mov_b32_e32 v11, s6
	s_waitcnt vmcnt(16)
	v_lshrrev_b32_e32 v2, 16, v6
	v_mul_f16_sdwa v3, v130, v2 dst_sel:DWORD dst_unused:UNUSED_PAD src0_sel:WORD_1 src1_sel:DWORD
	v_fma_f16 v3, v130, v6, v3
	v_mul_f16_sdwa v6, v130, v6 dst_sel:DWORD dst_unused:UNUSED_PAD src0_sel:WORD_1 src1_sel:DWORD
	v_fma_f16 v2, v130, v2, -v6
	v_pack_b32_f16 v2, v3, v2
	s_waitcnt vmcnt(15)
	v_lshrrev_b32_e32 v3, 16, v9
	v_mul_f16_sdwa v6, v127, v3 dst_sel:DWORD dst_unused:UNUSED_PAD src0_sel:WORD_1 src1_sel:DWORD
	v_fma_f16 v6, v127, v9, v6
	v_mul_f16_sdwa v7, v127, v9 dst_sel:DWORD dst_unused:UNUSED_PAD src0_sel:WORD_1 src1_sel:DWORD
	v_mov_b32_e32 v9, s6
	v_fma_f16 v3, v127, v3, -v7
	v_addc_co_u32_e32 v1, vcc, v1, v9, vcc
	v_pack_b32_f16 v3, v6, v3
	s_waitcnt vmcnt(14)
	v_lshrrev_b32_e32 v6, 16, v13
	global_load_dword v9, v[0:1], off
	v_add_co_u32_e32 v0, vcc, s7, v0
	v_mul_f16_sdwa v7, v128, v6 dst_sel:DWORD dst_unused:UNUSED_PAD src0_sel:WORD_1 src1_sel:DWORD
	v_mul_f16_sdwa v10, v128, v13 dst_sel:DWORD dst_unused:UNUSED_PAD src0_sel:WORD_1 src1_sel:DWORD
	v_addc_co_u32_e32 v1, vcc, v1, v11, vcc
	v_fma_f16 v7, v128, v13, v7
	v_fma_f16 v6, v128, v6, -v10
	global_load_dword v11, v[0:1], off
	v_mad_u64_u32 v[0:1], s[0:1], s12, v119, v[0:1]
	v_pack_b32_f16 v6, v7, v6
	s_waitcnt vmcnt(10)
	v_lshrrev_b32_e32 v7, 16, v5
	v_mul_f16_sdwa v10, v126, v7 dst_sel:DWORD dst_unused:UNUSED_PAD src0_sel:WORD_1 src1_sel:DWORD
	v_fma_f16 v10, v126, v5, v10
	v_mul_f16_sdwa v5, v126, v5 dst_sel:DWORD dst_unused:UNUSED_PAD src0_sel:WORD_1 src1_sel:DWORD
	v_fma_f16 v5, v126, v7, -v5
	s_waitcnt vmcnt(9)
	v_lshrrev_b32_e32 v7, 16, v14
	v_mul_f16_sdwa v12, v125, v14 dst_sel:DWORD dst_unused:UNUSED_PAD src0_sel:WORD_1 src1_sel:DWORD
	v_add_u32_e32 v1, s13, v1
	v_pack_b32_f16 v5, v10, v5
	v_mul_f16_sdwa v10, v125, v7 dst_sel:DWORD dst_unused:UNUSED_PAD src0_sel:WORD_1 src1_sel:DWORD
	v_fma_f16 v7, v125, v7, -v12
	global_load_dword v12, v[0:1], off
	v_fma_f16 v10, v125, v14, v10
	v_pack_b32_f16 v7, v10, v7
	v_mov_b32_e32 v10, s6
	v_add_co_u32_e32 v0, vcc, s7, v0
	v_addc_co_u32_e32 v1, vcc, v1, v10, vcc
	global_load_dword v10, v[0:1], off
	v_add_co_u32_e32 v0, vcc, s7, v0
	v_addc_co_u32_e32 v1, vcc, v1, v15, vcc
	global_load_dword v15, v[0:1], off
	v_add_co_u32_e32 v0, vcc, s7, v0
	s_waitcnt vmcnt(11)
	v_lshrrev_b32_e32 v13, 16, v4
	v_addc_co_u32_e32 v1, vcc, v1, v16, vcc
	v_mul_f16_sdwa v14, v123, v13 dst_sel:DWORD dst_unused:UNUSED_PAD src0_sel:WORD_1 src1_sel:DWORD
	global_load_dword v16, v[0:1], off
	v_fma_f16 v14, v123, v4, v14
	v_mul_f16_sdwa v4, v123, v4 dst_sel:DWORD dst_unused:UNUSED_PAD src0_sel:WORD_1 src1_sel:DWORD
	v_fma_f16 v4, v123, v13, -v4
	v_mov_b32_e32 v13, s6
	v_add_co_u32_e32 v0, vcc, s7, v0
	v_addc_co_u32_e32 v1, vcc, v1, v13, vcc
	global_load_dword v13, v[0:1], off
	v_add_co_u32_e32 v0, vcc, s7, v0
	v_addc_co_u32_e32 v1, vcc, v1, v18, vcc
	global_load_dword v18, v[0:1], off
	v_add_co_u32_e32 v0, vcc, s7, v0
	v_pack_b32_f16 v4, v14, v4
	s_waitcnt vmcnt(8)
	v_lshrrev_b32_e32 v14, 16, v8
	v_addc_co_u32_e32 v1, vcc, v1, v19, vcc
	v_mul_f16_sdwa v17, v122, v14 dst_sel:DWORD dst_unused:UNUSED_PAD src0_sel:WORD_1 src1_sel:DWORD
	global_load_dword v19, v[0:1], off
	v_fma_f16 v17, v122, v8, v17
	v_mul_f16_sdwa v8, v122, v8 dst_sel:DWORD dst_unused:UNUSED_PAD src0_sel:WORD_1 src1_sel:DWORD
	v_fma_f16 v8, v122, v14, -v8
	v_mov_b32_e32 v14, s6
	v_add_co_u32_e32 v0, vcc, s7, v0
	v_addc_co_u32_e32 v1, vcc, v1, v14, vcc
	global_load_dword v14, v[0:1], off
	v_add_co_u32_e32 v0, vcc, s7, v0
	v_addc_co_u32_e32 v1, vcc, v1, v21, vcc
	global_load_dword v21, v[0:1], off
	;; [unrolled: 3-line block ×3, first 2 shown]
	v_pack_b32_f16 v8, v17, v8
	s_waitcnt vmcnt(11)
	v_lshrrev_b32_e32 v17, 16, v9
	v_mul_f16_sdwa v20, v121, v17 dst_sel:DWORD dst_unused:UNUSED_PAD src0_sel:WORD_1 src1_sel:DWORD
	v_fma_f16 v20, v121, v9, v20
	v_mul_f16_sdwa v9, v121, v9 dst_sel:DWORD dst_unused:UNUSED_PAD src0_sel:WORD_1 src1_sel:DWORD
	v_fma_f16 v1, v121, v17, -v9
	s_waitcnt vmcnt(10)
	v_lshrrev_b32_e32 v9, 16, v11
	v_mul_f16_sdwa v17, v120, v9 dst_sel:DWORD dst_unused:UNUSED_PAD src0_sel:WORD_1 src1_sel:DWORD
	v_fma_f16 v17, v120, v11, v17
	v_mul_f16_sdwa v11, v120, v11 dst_sel:DWORD dst_unused:UNUSED_PAD src0_sel:WORD_1 src1_sel:DWORD
	v_fma_f16 v9, v120, v9, -v11
	v_pack_b32_f16 v9, v17, v9
	v_pack_b32_f16 v1, v20, v1
	s_movk_i32 s0, 0x3b9c
	s_mov_b32 s7, 0xbb9c
	s_mov_b32 s12, 0xb8b4
	s_movk_i32 s1, 0x38b4
	s_movk_i32 s6, 0x34f2
	s_waitcnt vmcnt(9)
	v_lshrrev_b32_e32 v11, 16, v12
	v_mul_f16_sdwa v17, v118, v11 dst_sel:DWORD dst_unused:UNUSED_PAD src0_sel:WORD_1 src1_sel:DWORD
	v_fma_f16 v17, v118, v12, v17
	v_mul_f16_sdwa v12, v118, v12 dst_sel:DWORD dst_unused:UNUSED_PAD src0_sel:WORD_1 src1_sel:DWORD
	v_fma_f16 v11, v118, v11, -v12
	v_pack_b32_f16 v11, v17, v11
	ds_write_b32 v149, v11 offset:1080
	s_movk_i32 s13, 0x10e
	s_waitcnt vmcnt(8)
	v_lshrrev_b32_e32 v11, 16, v10
	v_mul_f16_sdwa v12, v117, v11 dst_sel:DWORD dst_unused:UNUSED_PAD src0_sel:WORD_1 src1_sel:DWORD
	v_fma_f16 v12, v117, v10, v12
	v_mul_f16_sdwa v10, v117, v10 dst_sel:DWORD dst_unused:UNUSED_PAD src0_sel:WORD_1 src1_sel:DWORD
	v_fma_f16 v10, v117, v11, -v10
	v_pack_b32_f16 v10, v12, v10
	ds_write2_b32 v135, v2, v10 offset0:28 offset1:163
	s_waitcnt vmcnt(7)
	v_lshrrev_b32_e32 v2, 16, v15
	v_mul_f16_sdwa v10, v116, v2 dst_sel:DWORD dst_unused:UNUSED_PAD src0_sel:WORD_1 src1_sel:DWORD
	v_mul_f16_sdwa v11, v116, v15 dst_sel:DWORD dst_unused:UNUSED_PAD src0_sel:WORD_1 src1_sel:DWORD
	v_fma_f16 v10, v116, v15, v10
	v_fma_f16 v2, v116, v2, -v11
	v_pack_b32_f16 v2, v10, v2
	ds_write2_b32 v161, v3, v2 offset0:49 offset1:184
	s_waitcnt vmcnt(6)
	v_lshrrev_b32_e32 v2, 16, v16
	v_mul_f16_sdwa v3, v115, v2 dst_sel:DWORD dst_unused:UNUSED_PAD src0_sel:WORD_1 src1_sel:DWORD
	v_mul_f16_sdwa v10, v115, v16 dst_sel:DWORD dst_unused:UNUSED_PAD src0_sel:WORD_1 src1_sel:DWORD
	v_fma_f16 v3, v115, v16, v3
	v_fma_f16 v2, v115, v2, -v10
	v_pack_b32_f16 v2, v3, v2
	ds_write2_b32 v133, v6, v2 offset0:70 offset1:205
	s_waitcnt vmcnt(5)
	v_lshrrev_b32_e32 v2, 16, v13
	v_mul_f16_sdwa v3, v114, v2 dst_sel:DWORD dst_unused:UNUSED_PAD src0_sel:WORD_1 src1_sel:DWORD
	v_mul_f16_sdwa v6, v114, v13 dst_sel:DWORD dst_unused:UNUSED_PAD src0_sel:WORD_1 src1_sel:DWORD
	v_fma_f16 v3, v114, v13, v3
	v_fma_f16 v2, v114, v2, -v6
	v_pack_b32_f16 v2, v3, v2
	ds_write2_b32 v156, v5, v2 offset0:91 offset1:226
	s_waitcnt vmcnt(4)
	v_lshrrev_b32_e32 v2, 16, v18
	v_mul_f16_sdwa v3, v113, v2 dst_sel:DWORD dst_unused:UNUSED_PAD src0_sel:WORD_1 src1_sel:DWORD
	v_mul_f16_sdwa v5, v113, v18 dst_sel:DWORD dst_unused:UNUSED_PAD src0_sel:WORD_1 src1_sel:DWORD
	v_fma_f16 v3, v113, v18, v3
	v_fma_f16 v2, v113, v2, -v5
	v_pack_b32_f16 v2, v3, v2
	ds_write2_b32 v132, v7, v2 offset0:112 offset1:247
	s_waitcnt vmcnt(3)
	v_lshrrev_b32_e32 v2, 16, v19
	v_mul_f16_sdwa v3, v112, v2 dst_sel:DWORD dst_unused:UNUSED_PAD src0_sel:WORD_1 src1_sel:DWORD
	v_mul_f16_sdwa v5, v112, v19 dst_sel:DWORD dst_unused:UNUSED_PAD src0_sel:WORD_1 src1_sel:DWORD
	v_fma_f16 v3, v112, v19, v3
	v_fma_f16 v2, v112, v2, -v5
	v_pack_b32_f16 v2, v3, v2
	ds_write2_b32 v162, v4, v2 offset0:5 offset1:140
	s_waitcnt vmcnt(2)
	v_lshrrev_b32_e32 v2, 16, v14
	v_mul_f16_sdwa v3, v111, v2 dst_sel:DWORD dst_unused:UNUSED_PAD src0_sel:WORD_1 src1_sel:DWORD
	v_mul_f16_sdwa v4, v111, v14 dst_sel:DWORD dst_unused:UNUSED_PAD src0_sel:WORD_1 src1_sel:DWORD
	v_fma_f16 v3, v111, v14, v3
	v_fma_f16 v2, v111, v2, -v4
	v_pack_b32_f16 v2, v3, v2
	ds_write2_b32 v129, v8, v2 offset0:26 offset1:161
	s_waitcnt vmcnt(1)
	v_lshrrev_b32_e32 v2, 16, v21
	v_mul_f16_sdwa v3, v110, v2 dst_sel:DWORD dst_unused:UNUSED_PAD src0_sel:WORD_1 src1_sel:DWORD
	v_mul_f16_sdwa v4, v110, v21 dst_sel:DWORD dst_unused:UNUSED_PAD src0_sel:WORD_1 src1_sel:DWORD
	v_fma_f16 v3, v110, v21, v3
	v_fma_f16 v2, v110, v2, -v4
	v_pack_b32_f16 v2, v3, v2
	ds_write2_b32 v163, v1, v2 offset0:47 offset1:182
	s_waitcnt vmcnt(0)
	v_lshrrev_b32_e32 v1, 16, v0
	v_mul_f16_sdwa v2, v109, v1 dst_sel:DWORD dst_unused:UNUSED_PAD src0_sel:WORD_1 src1_sel:DWORD
	v_fma_f16 v2, v109, v0, v2
	v_mul_f16_sdwa v0, v109, v0 dst_sel:DWORD dst_unused:UNUSED_PAD src0_sel:WORD_1 src1_sel:DWORD
	v_fma_f16 v0, v109, v1, -v0
	v_pack_b32_f16 v0, v2, v0
	ds_write2_b32 v124, v9, v0 offset0:68 offset1:203
	s_waitcnt lgkmcnt(0)
	s_barrier
	ds_read2_b32 v[10:11], v154 offset0:42 offset1:177
	ds_read2_b32 v[16:17], v146 offset0:40 offset1:175
	ds_read2_b32 v[12:13], v149 offset1:135
	ds_read2_b32 v[14:15], v152 offset0:84 offset1:219
	ds_read2_b32 v[18:19], v150 offset0:62 offset1:197
	;; [unrolled: 1-line block ×3, first 2 shown]
	s_waitcnt lgkmcnt(4)
	v_add_f16_e32 v4, v10, v16
	s_waitcnt lgkmcnt(3)
	v_fma_f16 v4, v4, -0.5, v12
	v_sub_f16_sdwa v22, v10, v16 dst_sel:DWORD dst_unused:UNUSED_PAD src0_sel:WORD_1 src1_sel:WORD_1
	s_waitcnt lgkmcnt(1)
	v_sub_f16_sdwa v23, v14, v18 dst_sel:DWORD dst_unused:UNUSED_PAD src0_sel:WORD_1 src1_sel:WORD_1
	v_fma_f16 v5, v23, s7, v4
	v_sub_f16_e32 v6, v14, v10
	v_sub_f16_e32 v7, v18, v16
	v_fma_f16 v4, v23, s0, v4
	v_add_f16_e32 v6, v6, v7
	v_fma_f16 v4, v22, s12, v4
	v_lshrrev_b32_e32 v21, 16, v12
	v_fma_f16 v5, v22, s1, v5
	v_fma_f16 v20, v6, s6, v4
	v_add_f16_sdwa v4, v10, v16 dst_sel:DWORD dst_unused:UNUSED_PAD src0_sel:WORD_1 src1_sel:WORD_1
	v_fma_f16 v26, v6, s6, v5
	v_sub_f16_e32 v28, v14, v18
	v_fma_f16 v4, v4, -0.5, v21
	v_sub_f16_sdwa v5, v14, v10 dst_sel:DWORD dst_unused:UNUSED_PAD src0_sel:WORD_1 src1_sel:WORD_1
	v_sub_f16_sdwa v6, v18, v16 dst_sel:DWORD dst_unused:UNUSED_PAD src0_sel:WORD_1 src1_sel:WORD_1
	v_sub_f16_e32 v27, v10, v16
	v_add_f16_e32 v8, v5, v6
	v_fma_f16 v5, v28, s0, v4
	v_fma_f16 v5, v27, s12, v5
	;; [unrolled: 1-line block ×3, first 2 shown]
	ds_read2_b32 v[2:3], v151 offset0:98 offset1:233
	v_fma_f16 v29, v8, s6, v5
	v_fma_f16 v9, v27, s1, v4
	ds_read2_b32 v[6:7], v148 offset0:12 offset1:147
	ds_read2_b32 v[4:5], v143 offset0:54 offset1:189
	v_fma_f16 v25, v8, s6, v9
	ds_read2_b32 v[8:9], v155 offset0:14 offset1:149
	s_waitcnt lgkmcnt(3)
	v_sub_f16_e32 v30, v3, v1
	s_waitcnt lgkmcnt(2)
	v_sub_f16_sdwa v45, v3, v7 dst_sel:DWORD dst_unused:UNUSED_PAD src0_sel:WORD_1 src1_sel:WORD_1
	s_waitcnt lgkmcnt(1)
	v_sub_f16_e32 v31, v7, v5
	v_add_f16_e32 v30, v30, v31
	v_add_f16_e32 v31, v1, v5
	s_waitcnt lgkmcnt(0)
	v_fma_f16 v31, v31, -0.5, v9
	v_sub_f16_sdwa v32, v1, v5 dst_sel:DWORD dst_unused:UNUSED_PAD src0_sel:WORD_1 src1_sel:WORD_1
	v_fma_f16 v35, v45, s7, v31
	v_fma_f16 v31, v45, s0, v31
	;; [unrolled: 1-line block ×6, first 2 shown]
	v_sub_f16_sdwa v31, v3, v1 dst_sel:DWORD dst_unused:UNUSED_PAD src0_sel:WORD_1 src1_sel:WORD_1
	v_sub_f16_sdwa v36, v7, v5 dst_sel:DWORD dst_unused:UNUSED_PAD src0_sel:WORD_1 src1_sel:WORD_1
	v_add_f16_e32 v31, v31, v36
	v_lshrrev_b32_e32 v36, 16, v9
	v_add_f16_sdwa v37, v1, v5 dst_sel:DWORD dst_unused:UNUSED_PAD src0_sel:WORD_1 src1_sel:WORD_1
	v_fma_f16 v37, v37, -0.5, v36
	v_sub_f16_e32 v47, v3, v7
	v_sub_f16_e32 v46, v1, v5
	v_fma_f16 v38, v47, s0, v37
	v_fma_f16 v38, v46, s12, v38
	;; [unrolled: 1-line block ×6, first 2 shown]
	v_mul_f16_e32 v37, 0x3b9c, v38
	v_fma_f16 v48, v35, s6, v37
	v_mul_f16_e32 v35, 0xbb9c, v35
	v_fma_f16 v49, v38, s6, v35
	;; [unrolled: 2-line block ×4, first 2 shown]
	v_add_f16_e32 v30, v20, v50
	v_add_f16_e32 v31, v25, v51
	v_pack_b32_f16 v31, v30, v31
	v_add_f16_e32 v30, v26, v48
	v_add_f16_e32 v35, v29, v49
	v_pack_b32_f16 v30, v30, v35
	v_sub_f16_e32 v35, v10, v14
	v_sub_f16_e32 v37, v16, v18
	v_add_f16_e32 v52, v35, v37
	v_sub_f16_sdwa v35, v10, v14 dst_sel:DWORD dst_unused:UNUSED_PAD src0_sel:WORD_1 src1_sel:WORD_1
	v_sub_f16_sdwa v37, v16, v18 dst_sel:DWORD dst_unused:UNUSED_PAD src0_sel:WORD_1 src1_sel:WORD_1
	v_add_f16_e32 v53, v35, v37
	v_sub_f16_e32 v35, v1, v3
	v_sub_f16_e32 v37, v5, v7
	v_add_f16_e32 v54, v35, v37
	v_sub_f16_sdwa v35, v1, v3 dst_sel:DWORD dst_unused:UNUSED_PAD src0_sel:WORD_1 src1_sel:WORD_1
	v_sub_f16_sdwa v37, v5, v7 dst_sel:DWORD dst_unused:UNUSED_PAD src0_sel:WORD_1 src1_sel:WORD_1
	v_add_f16_e32 v55, v35, v37
	v_add_f16_e32 v35, v3, v7
	v_fma_f16 v56, v35, -0.5, v9
	v_add_f16_sdwa v37, v3, v7 dst_sel:DWORD dst_unused:UNUSED_PAD src0_sel:WORD_1 src1_sel:WORD_1
	v_fma_f16 v35, v32, s0, v56
	v_fma_f16 v57, v37, -0.5, v36
	v_fma_f16 v35, v45, s1, v35
	v_fma_f16 v37, v46, s7, v57
	;; [unrolled: 1-line block ×5, first 2 shown]
	v_mul_f16_e32 v38, 0x3a79, v35
	v_mul_f16_e32 v35, 0xb8b4, v35
	v_fma_f16 v59, v37, s15, v35
	v_add_f16_e32 v35, v12, v10
	v_add_f16_e32 v35, v35, v14
	;; [unrolled: 1-line block ×5, first 2 shown]
	v_fma_f16 v12, v35, -0.5, v12
	v_fma_f16 v35, v22, s0, v12
	v_fma_f16 v35, v23, s1, v35
	v_add_f16_sdwa v10, v21, v10 dst_sel:DWORD dst_unused:UNUSED_PAD src0_sel:DWORD src1_sel:WORD_1
	v_fma_f16 v61, v52, s6, v35
	v_add_f16_sdwa v35, v14, v18 dst_sel:DWORD dst_unused:UNUSED_PAD src0_sel:WORD_1 src1_sel:WORD_1
	v_add_f16_sdwa v10, v10, v14 dst_sel:DWORD dst_unused:UNUSED_PAD src0_sel:DWORD src1_sel:WORD_1
	v_fma_f16 v62, v35, -0.5, v21
	v_add_f16_sdwa v10, v10, v18 dst_sel:DWORD dst_unused:UNUSED_PAD src0_sel:DWORD src1_sel:WORD_1
	v_add_f16_sdwa v14, v10, v16 dst_sel:DWORD dst_unused:UNUSED_PAD src0_sel:DWORD src1_sel:WORD_1
	v_fma_f16 v10, v27, s7, v62
	v_add_f16_e32 v9, v9, v1
	v_add_f16_sdwa v1, v36, v1 dst_sel:DWORD dst_unused:UNUSED_PAD src0_sel:DWORD src1_sel:WORD_1
	v_fma_f16 v10, v28, s12, v10
	v_add_f16_e32 v9, v9, v3
	v_add_f16_sdwa v1, v1, v3 dst_sel:DWORD dst_unused:UNUSED_PAD src0_sel:DWORD src1_sel:WORD_1
	v_fma_f16 v58, v37, s1, v38
	v_fma_f16 v16, v53, s6, v10
	v_add_f16_e32 v9, v9, v7
	v_add_f16_sdwa v1, v1, v7 dst_sel:DWORD dst_unused:UNUSED_PAD src0_sel:DWORD src1_sel:WORD_1
	v_add_f16_e32 v18, v9, v5
	v_add_f16_sdwa v1, v1, v5 dst_sel:DWORD dst_unused:UNUSED_PAD src0_sel:DWORD src1_sel:WORD_1
	v_add_f16_e32 v3, v61, v58
	v_add_f16_e32 v5, v16, v59
	v_pack_b32_f16 v10, v3, v5
	v_add_f16_e32 v3, v60, v18
	v_add_f16_e32 v5, v14, v1
	v_pack_b32_f16 v9, v3, v5
	v_mul_lo_u16_e32 v3, 10, v145
	v_lshlrev_b32_e32 v157, 2, v3
	v_sub_f16_e32 v3, v61, v58
	v_sub_f16_e32 v7, v16, v59
	ds_read2_b32 v[35:36], v135 offset0:28 offset1:163
	ds_read2_b32 v[37:38], v133 offset0:70 offset1:205
	;; [unrolled: 1-line block ×5, first 2 shown]
	s_waitcnt lgkmcnt(0)
	s_barrier
	ds_write2_b64 v157, v[9:10], v[30:31] offset1:1
	v_pack_b32_f16 v9, v3, v7
	v_fma_f16 v7, v32, s7, v56
	v_fma_f16 v3, v22, s7, v12
	;; [unrolled: 1-line block ×4, first 2 shown]
	v_sub_f16_e32 v5, v26, v48
	v_sub_f16_e32 v10, v29, v49
	v_fma_f16 v7, v54, s6, v7
	v_fma_f16 v12, v47, s1, v12
	v_pack_b32_f16 v10, v5, v10
	v_fma_f16 v5, v27, s0, v62
	v_fma_f16 v12, v55, s6, v12
	v_mul_f16_e32 v16, 0xba79, v7
	v_fma_f16 v3, v23, s12, v3
	v_fma_f16 v5, v28, s1, v5
	;; [unrolled: 1-line block ×3, first 2 shown]
	v_mul_f16_e32 v12, 0xba79, v12
	v_fma_f16 v3, v52, s6, v3
	v_fma_f16 v5, v53, s6, v5
	;; [unrolled: 1-line block ×3, first 2 shown]
	v_sub_f16_e32 v12, v60, v18
	v_sub_f16_e32 v1, v14, v1
	v_add_f16_e32 v14, v3, v16
	v_add_f16_e32 v18, v5, v7
	v_pack_b32_f16 v21, v14, v18
	v_pack_b32_f16 v22, v12, v1
	ds_write2_b64 v157, v[21:22], v[9:10] offset0:2 offset1:3
	v_add_f16_e32 v9, v11, v17
	v_fma_f16 v12, v9, -0.5, v13
	v_lshrrev_b32_e32 v14, 16, v13
	v_add_f16_e32 v9, v13, v11
	v_add_f16_e32 v9, v9, v15
	v_add_f16_sdwa v10, v14, v11 dst_sel:DWORD dst_unused:UNUSED_PAD src0_sel:DWORD src1_sel:WORD_1
	v_add_f16_sdwa v10, v10, v15 dst_sel:DWORD dst_unused:UNUSED_PAD src0_sel:DWORD src1_sel:WORD_1
	v_add_f16_e32 v9, v9, v19
	v_add_f16_e32 v1, v15, v19
	v_add_f16_sdwa v10, v10, v19 dst_sel:DWORD dst_unused:UNUSED_PAD src0_sel:DWORD src1_sel:WORD_1
	v_add_f16_e32 v32, v9, v17
	v_sub_f16_e32 v9, v20, v50
	v_sub_f16_e32 v3, v3, v16
	;; [unrolled: 1-line block ×4, first 2 shown]
	v_fma_f16 v1, v1, -0.5, v13
	v_sub_f16_sdwa v13, v15, v19 dst_sel:DWORD dst_unused:UNUSED_PAD src0_sel:WORD_1 src1_sel:WORD_1
	v_sub_f16_e32 v18, v11, v15
	v_sub_f16_e32 v21, v15, v11
	v_add_f16_sdwa v22, v15, v19 dst_sel:DWORD dst_unused:UNUSED_PAD src0_sel:WORD_1 src1_sel:WORD_1
	v_sub_f16_e32 v23, v15, v19
	v_sub_f16_sdwa v26, v11, v15 dst_sel:DWORD dst_unused:UNUSED_PAD src0_sel:WORD_1 src1_sel:WORD_1
	v_sub_f16_sdwa v15, v15, v11 dst_sel:DWORD dst_unused:UNUSED_PAD src0_sel:WORD_1 src1_sel:WORD_1
	;; [unrolled: 1-line block ×3, first 2 shown]
	v_sub_f16_e32 v28, v11, v17
	v_add_f16_sdwa v11, v11, v17 dst_sel:DWORD dst_unused:UNUSED_PAD src0_sel:WORD_1 src1_sel:WORD_1
	v_sub_f16_e32 v29, v17, v19
	v_sub_f16_e32 v30, v19, v17
	v_sub_f16_sdwa v31, v17, v19 dst_sel:DWORD dst_unused:UNUSED_PAD src0_sel:WORD_1 src1_sel:WORD_1
	v_sub_f16_sdwa v19, v19, v17 dst_sel:DWORD dst_unused:UNUSED_PAD src0_sel:WORD_1 src1_sel:WORD_1
	v_add_f16_sdwa v17, v10, v17 dst_sel:DWORD dst_unused:UNUSED_PAD src0_sel:DWORD src1_sel:WORD_1
	v_pack_b32_f16 v10, v3, v5
	v_pack_b32_f16 v9, v9, v16
	ds_write_b64 v157, v[9:10] offset:32
	v_fma_f16 v5, v13, s7, v12
	v_fma_f16 v7, v13, s0, v12
	v_fma_f16 v9, v11, -0.5, v14
	v_add_f16_e32 v3, v21, v30
	v_fma_f16 v5, v27, s1, v5
	v_fma_f16 v7, v27, s12, v7
	v_fma_f16 v10, v23, s0, v9
	v_fma_f16 v9, v23, s7, v9
	v_fma_f16 v5, v3, s6, v5
	v_fma_f16 v3, v3, s6, v7
	v_add_f16_e32 v7, v15, v19
	v_fma_f16 v10, v28, s12, v10
	v_fma_f16 v9, v28, s1, v9
	;; [unrolled: 1-line block ×4, first 2 shown]
	v_sub_f16_e32 v9, v39, v37
	v_sub_f16_e32 v10, v41, v43
	v_add_f16_e32 v9, v9, v10
	v_add_f16_e32 v10, v37, v43
	v_fma_f16 v10, v10, -0.5, v35
	v_sub_f16_sdwa v19, v39, v41 dst_sel:DWORD dst_unused:UNUSED_PAD src0_sel:WORD_1 src1_sel:WORD_1
	v_sub_f16_sdwa v16, v37, v43 dst_sel:DWORD dst_unused:UNUSED_PAD src0_sel:WORD_1 src1_sel:WORD_1
	v_fma_f16 v11, v19, s7, v10
	v_fma_f16 v10, v19, s0, v10
	;; [unrolled: 1-line block ×6, first 2 shown]
	v_sub_f16_sdwa v10, v39, v37 dst_sel:DWORD dst_unused:UNUSED_PAD src0_sel:WORD_1 src1_sel:WORD_1
	v_sub_f16_sdwa v12, v41, v43 dst_sel:DWORD dst_unused:UNUSED_PAD src0_sel:WORD_1 src1_sel:WORD_1
	v_add_f16_e32 v10, v10, v12
	v_lshrrev_b32_e32 v12, 16, v35
	v_add_f16_sdwa v20, v37, v43 dst_sel:DWORD dst_unused:UNUSED_PAD src0_sel:WORD_1 src1_sel:WORD_1
	v_fma_f16 v20, v20, -0.5, v12
	v_sub_f16_e32 v25, v39, v41
	v_sub_f16_e32 v21, v37, v43
	v_fma_f16 v30, v25, s0, v20
	v_fma_f16 v30, v21, s12, v30
	;; [unrolled: 1-line block ×6, first 2 shown]
	v_mul_f16_e32 v20, 0x3b9c, v30
	v_fma_f16 v20, v11, s6, v20
	v_mul_f16_e32 v11, 0xbb9c, v11
	v_fma_f16 v30, v30, s6, v11
	;; [unrolled: 2-line block ×4, first 2 shown]
	v_add_f16_e32 v9, v3, v45
	v_add_f16_e32 v10, v7, v46
	v_pack_b32_f16 v10, v9, v10
	v_add_f16_e32 v9, v5, v20
	v_add_f16_e32 v11, v15, v30
	v_pack_b32_f16 v9, v9, v11
	v_fma_f16 v14, v22, -0.5, v14
	v_add_f16_e32 v22, v26, v31
	v_sub_f16_e32 v11, v37, v39
	v_sub_f16_e32 v26, v43, v41
	v_add_f16_e32 v18, v18, v29
	v_add_f16_e32 v26, v11, v26
	v_sub_f16_sdwa v11, v37, v39 dst_sel:DWORD dst_unused:UNUSED_PAD src0_sel:WORD_1 src1_sel:WORD_1
	v_sub_f16_sdwa v29, v43, v41 dst_sel:DWORD dst_unused:UNUSED_PAD src0_sel:WORD_1 src1_sel:WORD_1
	v_add_f16_e32 v29, v11, v29
	v_add_f16_e32 v11, v39, v41
	v_fma_f16 v31, v11, -0.5, v35
	v_add_f16_sdwa v47, v39, v41 dst_sel:DWORD dst_unused:UNUSED_PAD src0_sel:WORD_1 src1_sel:WORD_1
	v_fma_f16 v11, v16, s0, v31
	v_fma_f16 v48, v47, -0.5, v12
	v_fma_f16 v11, v19, s1, v11
	v_fma_f16 v47, v21, s7, v48
	;; [unrolled: 1-line block ×5, first 2 shown]
	v_mul_f16_e32 v49, 0x3a79, v11
	v_mul_f16_e32 v11, 0xb8b4, v11
	v_fma_f16 v50, v47, s15, v11
	v_fma_f16 v11, v27, s0, v1
	;; [unrolled: 1-line block ×7, first 2 shown]
	v_add_f16_e32 v11, v35, v37
	v_add_f16_e32 v11, v11, v39
	;; [unrolled: 1-line block ×4, first 2 shown]
	v_add_f16_sdwa v11, v12, v37 dst_sel:DWORD dst_unused:UNUSED_PAD src0_sel:DWORD src1_sel:WORD_1
	v_add_f16_sdwa v11, v11, v39 dst_sel:DWORD dst_unused:UNUSED_PAD src0_sel:DWORD src1_sel:WORD_1
	v_fma_f16 v49, v47, s1, v49
	v_add_f16_sdwa v11, v11, v41 dst_sel:DWORD dst_unused:UNUSED_PAD src0_sel:DWORD src1_sel:WORD_1
	v_add_f16_sdwa v37, v11, v43 dst_sel:DWORD dst_unused:UNUSED_PAD src0_sel:DWORD src1_sel:WORD_1
	v_add_f16_e32 v11, v51, v49
	v_add_f16_e32 v12, v52, v50
	v_pack_b32_f16 v12, v11, v12
	v_add_f16_e32 v11, v32, v35
	v_add_f16_e32 v39, v17, v37
	v_add_co_u32_e32 v55, vcc, s17, v145
	v_pack_b32_f16 v11, v11, v39
	v_mul_u32_u24_e32 v39, 10, v55
	v_lshlrev_b32_e32 v158, 2, v39
	ds_write2_b64 v158, v[11:12], v[9:10] offset1:1
	v_sub_f16_e32 v9, v51, v49
	v_sub_f16_e32 v5, v5, v20
	;; [unrolled: 1-line block ×4, first 2 shown]
	v_pack_b32_f16 v9, v9, v10
	v_pack_b32_f16 v10, v5, v11
	v_fma_f16 v11, v16, s7, v31
	v_fma_f16 v11, v19, s12, v11
	;; [unrolled: 1-line block ×9, first 2 shown]
	v_mul_f16_e32 v13, 0xba79, v11
	v_fma_f16 v5, v23, s1, v5
	v_fma_f16 v13, v12, s1, v13
	v_mul_f16_e32 v12, 0xba79, v12
	v_fma_f16 v1, v18, s6, v1
	v_fma_f16 v5, v22, s6, v5
	;; [unrolled: 1-line block ×3, first 2 shown]
	v_sub_f16_e32 v12, v32, v35
	v_sub_f16_e32 v15, v17, v37
	v_add_f16_e32 v11, v1, v13
	v_add_f16_e32 v16, v5, v14
	v_pack_b32_f16 v11, v11, v16
	v_pack_b32_f16 v12, v12, v15
	ds_write2_b64 v158, v[11:12], v[9:10] offset0:2 offset1:3
	v_add_f16_e32 v9, v2, v6
	v_add_f16_e32 v10, v0, v4
	v_fma_f16 v9, v9, -0.5, v8
	v_fma_f16 v10, v10, -0.5, v8
	v_lshrrev_b32_e32 v11, 16, v8
	v_add_f16_e32 v8, v8, v0
	v_add_f16_e32 v8, v8, v2
	v_add_f16_sdwa v12, v11, v0 dst_sel:DWORD dst_unused:UNUSED_PAD src0_sel:DWORD src1_sel:WORD_1
	v_add_f16_sdwa v12, v12, v2 dst_sel:DWORD dst_unused:UNUSED_PAD src0_sel:DWORD src1_sel:WORD_1
	v_sub_f16_sdwa v15, v2, v6 dst_sel:DWORD dst_unused:UNUSED_PAD src0_sel:WORD_1 src1_sel:WORD_1
	v_sub_f16_e32 v16, v0, v2
	v_sub_f16_e32 v17, v2, v0
	v_add_f16_sdwa v18, v2, v6 dst_sel:DWORD dst_unused:UNUSED_PAD src0_sel:WORD_1 src1_sel:WORD_1
	v_sub_f16_e32 v19, v2, v6
	v_sub_f16_sdwa v20, v0, v2 dst_sel:DWORD dst_unused:UNUSED_PAD src0_sel:WORD_1 src1_sel:WORD_1
	v_sub_f16_sdwa v2, v2, v0 dst_sel:DWORD dst_unused:UNUSED_PAD src0_sel:WORD_1 src1_sel:WORD_1
	v_sub_f16_sdwa v21, v0, v4 dst_sel:DWORD dst_unused:UNUSED_PAD src0_sel:WORD_1 src1_sel:WORD_1
	v_sub_f16_e32 v22, v0, v4
	v_add_f16_sdwa v23, v0, v4 dst_sel:DWORD dst_unused:UNUSED_PAD src0_sel:WORD_1 src1_sel:WORD_1
	v_add_f16_e32 v0, v8, v6
	v_add_f16_sdwa v8, v12, v6 dst_sel:DWORD dst_unused:UNUSED_PAD src0_sel:DWORD src1_sel:WORD_1
	v_add_f16_e32 v27, v0, v4
	v_add_f16_e32 v0, v40, v42
	v_sub_f16_e32 v12, v4, v6
	v_sub_f16_e32 v25, v6, v4
	v_sub_f16_sdwa v26, v4, v6 dst_sel:DWORD dst_unused:UNUSED_PAD src0_sel:WORD_1 src1_sel:WORD_1
	v_sub_f16_sdwa v6, v6, v4 dst_sel:DWORD dst_unused:UNUSED_PAD src0_sel:WORD_1 src1_sel:WORD_1
	v_add_f16_sdwa v4, v8, v4 dst_sel:DWORD dst_unused:UNUSED_PAD src0_sel:DWORD src1_sel:WORD_1
	v_fma_f16 v8, v0, -0.5, v36
	v_add_f16_e32 v0, v38, v44
	v_fma_f16 v28, v0, -0.5, v36
	v_add_f16_e32 v0, v36, v38
	v_add_f16_e32 v0, v0, v40
	;; [unrolled: 1-line block ×4, first 2 shown]
	v_sub_f16_e32 v0, v3, v45
	v_sub_f16_e32 v1, v1, v13
	;; [unrolled: 1-line block ×4, first 2 shown]
	v_pack_b32_f16 v1, v1, v5
	v_pack_b32_f16 v0, v0, v3
	ds_write_b64 v158, v[0:1] offset:32
	v_fma_f16 v1, v15, s7, v10
	v_add_f16_e32 v0, v17, v25
	v_fma_f16 v1, v21, s1, v1
	v_fma_f16 v3, v0, s6, v1
	;; [unrolled: 1-line block ×4, first 2 shown]
	v_lshrrev_b32_e32 v29, 16, v36
	v_fma_f16 v5, v0, s6, v1
	v_fma_f16 v1, v23, -0.5, v11
	v_add_f16_sdwa v30, v29, v38 dst_sel:DWORD dst_unused:UNUSED_PAD src0_sel:DWORD src1_sel:WORD_1
	v_add_f16_e32 v0, v2, v6
	v_fma_f16 v2, v19, s0, v1
	v_fma_f16 v1, v19, s7, v1
	v_add_f16_sdwa v30, v30, v40 dst_sel:DWORD dst_unused:UNUSED_PAD src0_sel:DWORD src1_sel:WORD_1
	v_sub_f16_sdwa v31, v40, v42 dst_sel:DWORD dst_unused:UNUSED_PAD src0_sel:WORD_1 src1_sel:WORD_1
	v_sub_f16_e32 v32, v38, v40
	v_sub_f16_e32 v35, v40, v38
	v_add_f16_sdwa v36, v40, v42 dst_sel:DWORD dst_unused:UNUSED_PAD src0_sel:WORD_1 src1_sel:WORD_1
	v_sub_f16_e32 v37, v40, v42
	v_sub_f16_sdwa v39, v38, v40 dst_sel:DWORD dst_unused:UNUSED_PAD src0_sel:WORD_1 src1_sel:WORD_1
	v_sub_f16_sdwa v40, v40, v38 dst_sel:DWORD dst_unused:UNUSED_PAD src0_sel:WORD_1 src1_sel:WORD_1
	;; [unrolled: 1-line block ×3, first 2 shown]
	v_sub_f16_e32 v43, v38, v44
	v_add_f16_sdwa v38, v38, v44 dst_sel:DWORD dst_unused:UNUSED_PAD src0_sel:WORD_1 src1_sel:WORD_1
	v_fma_f16 v1, v22, s1, v1
	v_sub_f16_e32 v49, v42, v44
	v_fma_f16 v2, v22, s12, v2
	v_fma_f16 v6, v0, s6, v1
	;; [unrolled: 1-line block ×4, first 2 shown]
	v_fma_f16 v10, v38, -0.5, v29
	v_add_f16_sdwa v30, v30, v42 dst_sel:DWORD dst_unused:UNUSED_PAD src0_sel:DWORD src1_sel:WORD_1
	v_sub_f16_e32 v48, v44, v42
	v_sub_f16_sdwa v50, v44, v42 dst_sel:DWORD dst_unused:UNUSED_PAD src0_sel:WORD_1 src1_sel:WORD_1
	v_sub_f16_sdwa v42, v42, v44 dst_sel:DWORD dst_unused:UNUSED_PAD src0_sel:WORD_1 src1_sel:WORD_1
	v_fma_f16 v2, v0, s6, v2
	v_add_f16_e32 v0, v35, v49
	v_fma_f16 v1, v41, s1, v1
	v_fma_f16 v7, v41, s12, v7
	;; [unrolled: 1-line block ×5, first 2 shown]
	v_add_f16_e32 v7, v40, v42
	v_fma_f16 v13, v43, s12, v13
	v_fma_f16 v10, v37, s7, v10
	;; [unrolled: 1-line block ×5, first 2 shown]
	v_mul_f16_e32 v10, 0x3b9c, v13
	v_fma_f16 v10, v1, s6, v10
	v_mul_f16_e32 v1, 0xbb9c, v1
	v_fma_f16 v13, v13, s6, v1
	;; [unrolled: 2-line block ×4, first 2 shown]
	v_add_f16_e32 v12, v16, v12
	v_fma_f16 v16, v21, s0, v9
	v_add_f16_e32 v0, v5, v14
	v_add_f16_e32 v1, v6, v7
	v_fma_f16 v9, v21, s7, v9
	v_fma_f16 v16, v15, s1, v16
	v_fma_f16 v11, v18, -0.5, v11
	v_pack_b32_f16 v1, v0, v1
	v_add_f16_e32 v0, v3, v10
	v_add_f16_e32 v17, v2, v13
	v_fma_f16 v9, v15, s12, v9
	v_fma_f16 v15, v12, s6, v16
	;; [unrolled: 1-line block ×4, first 2 shown]
	v_pack_b32_f16 v0, v0, v17
	v_fma_f16 v9, v12, s6, v9
	v_add_f16_e32 v12, v20, v26
	v_fma_f16 v16, v19, s12, v16
	v_fma_f16 v11, v19, s1, v11
	;; [unrolled: 1-line block ×6, first 2 shown]
	v_add_f16_e32 v12, v32, v48
	v_fma_f16 v17, v31, s1, v17
	v_fma_f16 v8, v31, s12, v8
	;; [unrolled: 1-line block ×4, first 2 shown]
	v_fma_f16 v12, v36, -0.5, v29
	v_fma_f16 v19, v43, s7, v12
	v_fma_f16 v12, v43, s0, v12
	v_add_f16_e32 v18, v39, v50
	v_fma_f16 v19, v37, s12, v19
	v_fma_f16 v12, v37, s1, v12
	;; [unrolled: 1-line block ×4, first 2 shown]
	v_mul_f16_e32 v18, 0x3a79, v17
	v_mul_f16_e32 v17, 0xb8b4, v17
	v_fma_f16 v18, v19, s1, v18
	v_fma_f16 v17, v19, s15, v17
	v_mul_f16_e32 v19, 0xba79, v8
	v_fma_f16 v19, v12, s1, v19
	v_mul_f16_e32 v12, 0xba79, v12
	v_addc_co_u32_e64 v47, s[18:19], 0, 0, vcc
	v_add_f16_sdwa v30, v30, v44 dst_sel:DWORD dst_unused:UNUSED_PAD src0_sel:DWORD src1_sel:WORD_1
	v_fma_f16 v8, v8, s12, v12
	v_add_co_u32_e32 v75, vcc, s13, v145
	v_add_f16_e32 v12, v27, v51
	v_add_f16_e32 v21, v15, v18
	v_sub_f16_e32 v15, v15, v18
	v_sub_f16_e32 v10, v3, v10
	v_add_f16_e32 v18, v4, v30
	v_add_f16_e32 v3, v16, v17
	v_sub_f16_e32 v6, v6, v7
	v_add_f16_e32 v7, v11, v8
	v_sub_f16_e32 v8, v11, v8
	v_mul_u32_u24_e32 v11, 10, v75
	v_sub_f16_e32 v20, v27, v51
	v_sub_f16_e32 v5, v5, v14
	v_add_f16_e32 v14, v9, v19
	v_sub_f16_e32 v4, v4, v30
	v_sub_f16_e32 v16, v16, v17
	;; [unrolled: 1-line block ×3, first 2 shown]
	v_pack_b32_f16 v3, v21, v3
	v_pack_b32_f16 v2, v12, v18
	v_lshlrev_b32_e32 v160, 2, v11
	v_sub_f16_e32 v9, v9, v19
	ds_write2_b64 v160, v[2:3], v[0:1] offset1:1
	v_pack_b32_f16 v0, v15, v16
	v_pack_b32_f16 v1, v10, v13
	;; [unrolled: 1-line block ×4, first 2 shown]
	ds_write2_b64 v160, v[2:3], v[0:1] offset0:2 offset1:3
	v_pack_b32_f16 v1, v9, v8
	v_pack_b32_f16 v0, v5, v6
	s_movk_i32 s13, 0xcd
	ds_write_b64 v160, v[0:1] offset:32
	v_mul_lo_u16_sdwa v0, v145, s13 dst_sel:DWORD dst_unused:UNUSED_PAD src0_sel:BYTE_0 src1_sel:DWORD
	v_lshrrev_b16_e32 v8, 11, v0
	v_mul_lo_u16_e32 v0, 10, v8
	v_sub_u16_e32 v0, v145, v0
	v_and_b32_e32 v9, 0xff, v0
	v_lshlrev_b32_e32 v0, 4, v9
	s_waitcnt lgkmcnt(0)
	s_barrier
	global_load_dwordx4 v[0:3], v0, s[2:3]
	s_mov_b32 s13, 0xcccd
	v_mul_u32_u24_sdwa v4, v55, s13 dst_sel:DWORD dst_unused:UNUSED_PAD src0_sel:WORD_0 src1_sel:DWORD
	v_lshrrev_b32_e32 v35, 19, v4
	v_mul_lo_u16_e32 v4, 10, v35
	v_sub_u16_e32 v36, v55, v4
	v_lshlrev_b16_e32 v4, 2, v36
	v_lshlrev_b32_e32 v4, 2, v4
	global_load_dwordx4 v[4:7], v4, s[2:3]
	ds_read2_b32 v[25:26], v154 offset0:42 offset1:177
	ds_read2_b32 v[27:28], v152 offset0:84 offset1:219
	;; [unrolled: 1-line block ×3, first 2 shown]
	ds_read2_b32 v[41:42], v149 offset1:135
	ds_read2_b32 v[31:32], v146 offset0:40 offset1:175
	s_waitcnt lgkmcnt(4)
	v_lshrrev_b32_e32 v10, 16, v25
	v_mul_u32_u24_e32 v8, 50, v8
	v_add_lshl_u32 v159, v8, v9, 2
	s_waitcnt lgkmcnt(1)
	v_lshrrev_b32_e32 v67, 16, v41
	s_movk_i32 s17, 0x21c
	v_add_co_u32_e32 v76, vcc, s14, v145
	v_addc_co_u32_e64 v77, s[18:19], 0, 0, vcc
	v_add_co_u32_e32 v96, vcc, s17, v145
	v_add_co_u32_e32 v95, vcc, s20, v145
	ds_read2_b32 v[43:44], v155 offset0:14 offset1:149
	ds_read2_b32 v[45:46], v153 offset0:56 offset1:191
	ds_read2_b32 v[48:49], v151 offset0:98 offset1:233
	ds_read2_b32 v[50:51], v148 offset0:12 offset1:147
	ds_read2_b32 v[52:53], v143 offset0:54 offset1:189
	ds_read2_b32 v[56:57], v135 offset0:28 offset1:163
	ds_read2_b32 v[58:59], v133 offset0:70 offset1:205
	ds_read2_b32 v[60:61], v132 offset0:112 offset1:247
	ds_read2_b32 v[62:63], v129 offset0:26 offset1:161
	ds_read2_b32 v[64:65], v124 offset0:68 offset1:203
	s_mov_b32 s14, 0xbaee
	s_movk_i32 s17, 0x32a
	s_movk_i32 s19, 0x3b1
	;; [unrolled: 1-line block ×4, first 2 shown]
	s_waitcnt vmcnt(1)
	v_mul_f16_sdwa v11, v10, v0 dst_sel:DWORD dst_unused:UNUSED_PAD src0_sel:DWORD src1_sel:WORD_1
	v_fma_f16 v37, v25, v0, -v11
	v_mul_f16_sdwa v11, v25, v0 dst_sel:DWORD dst_unused:UNUSED_PAD src0_sel:DWORD src1_sel:WORD_1
	v_fma_f16 v25, v10, v0, v11
	v_lshrrev_b32_e32 v10, 16, v27
	v_mul_f16_sdwa v11, v27, v1 dst_sel:DWORD dst_unused:UNUSED_PAD src0_sel:DWORD src1_sel:WORD_1
	v_fma_f16 v38, v10, v1, v11
	v_mul_f16_sdwa v10, v10, v1 dst_sel:DWORD dst_unused:UNUSED_PAD src0_sel:DWORD src1_sel:WORD_1
	v_fma_f16 v27, v27, v1, -v10
	v_lshrrev_b32_e32 v10, 16, v29
	v_mul_f16_sdwa v11, v29, v2 dst_sel:DWORD dst_unused:UNUSED_PAD src0_sel:DWORD src1_sel:WORD_1
	v_fma_f16 v39, v10, v2, v11
	v_mul_f16_sdwa v10, v10, v2 dst_sel:DWORD dst_unused:UNUSED_PAD src0_sel:DWORD src1_sel:WORD_1
	v_fma_f16 v40, v29, v2, -v10
	s_waitcnt lgkmcnt(10)
	v_lshrrev_b32_e32 v10, 16, v31
	v_mul_f16_sdwa v11, v31, v3 dst_sel:DWORD dst_unused:UNUSED_PAD src0_sel:DWORD src1_sel:WORD_1
	v_add_f16_e32 v8, v41, v37
	v_add_f16_e32 v9, v67, v25
	v_fma_f16 v29, v10, v3, v11
	v_mul_f16_sdwa v10, v10, v3 dst_sel:DWORD dst_unused:UNUSED_PAD src0_sel:DWORD src1_sel:WORD_1
	v_add_f16_e32 v8, v8, v27
	v_add_f16_e32 v9, v9, v38
	v_fma_f16 v31, v31, v3, -v10
	v_add_f16_e32 v8, v8, v40
	v_add_f16_e32 v9, v9, v39
	;; [unrolled: 1-line block ×4, first 2 shown]
	v_pack_b32_f16 v68, v8, v9
	v_add_f16_e32 v8, v27, v40
	v_add_f16_e32 v9, v38, v39
	v_sub_f16_e32 v10, v37, v27
	v_sub_f16_e32 v11, v31, v40
	v_fma_f16 v69, v8, -0.5, v41
	v_sub_f16_e32 v70, v25, v29
	v_fma_f16 v72, v9, -0.5, v67
	v_sub_f16_e32 v73, v37, v31
	v_add_f16_e32 v54, v10, v11
	v_sub_f16_e32 v10, v25, v38
	v_sub_f16_e32 v11, v29, v39
	v_fma_f16 v8, v70, s0, v69
	v_sub_f16_e32 v71, v38, v39
	v_fma_f16 v9, v73, s7, v72
	v_sub_f16_e32 v74, v27, v40
	v_add_f16_e32 v66, v10, v11
	v_fma_f16 v8, v71, s1, v8
	v_fma_f16 v9, v74, s12, v9
	;; [unrolled: 1-line block ×4, first 2 shown]
	v_pack_b32_f16 v78, v8, v9
	v_mul_u32_u24_sdwa v8, v75, s13 dst_sel:DWORD dst_unused:UNUSED_PAD src0_sel:WORD_0 src1_sel:DWORD
	v_mul_u32_u24_sdwa v9, v76, s13 dst_sel:DWORD dst_unused:UNUSED_PAD src0_sel:WORD_0 src1_sel:DWORD
	;; [unrolled: 1-line block ×4, first 2 shown]
	v_lshrrev_b32_e32 v79, 19, v8
	v_lshrrev_b32_e32 v81, 19, v9
	;; [unrolled: 1-line block ×4, first 2 shown]
	v_mul_lo_u16_e32 v8, 10, v79
	v_mul_lo_u16_e32 v9, 10, v81
	;; [unrolled: 1-line block ×4, first 2 shown]
	v_sub_u16_e32 v80, v75, v8
	v_sub_u16_e32 v82, v76, v9
	;; [unrolled: 1-line block ×4, first 2 shown]
	v_lshlrev_b16_e32 v8, 2, v80
	v_lshlrev_b16_e32 v9, 2, v82
	;; [unrolled: 1-line block ×4, first 2 shown]
	v_lshlrev_b32_e32 v8, 2, v8
	v_lshlrev_b32_e32 v9, 2, v9
	;; [unrolled: 1-line block ×4, first 2 shown]
	global_load_dwordx4 v[20:23], v8, s[2:3]
	global_load_dwordx4 v[16:19], v9, s[2:3]
	;; [unrolled: 1-line block ×3, first 2 shown]
	s_nop 0
	global_load_dwordx4 v[8:11], v11, s[2:3]
	v_sub_f16_e32 v27, v27, v37
	v_add_f16_e32 v37, v37, v31
	v_sub_f16_e32 v31, v40, v31
	v_add_f16_e32 v27, v27, v31
	v_fma_f16 v31, v37, -0.5, v41
	v_fma_f16 v37, v71, s7, v31
	v_fma_f16 v31, v71, s0, v31
	;; [unrolled: 1-line block ×6, first 2 shown]
	v_add_f16_e32 v31, v25, v29
	v_fma_f16 v31, v31, -0.5, v67
	v_sub_f16_e32 v25, v38, v25
	v_sub_f16_e32 v29, v39, v29
	v_add_f16_e32 v25, v25, v29
	v_fma_f16 v29, v74, s0, v31
	v_fma_f16 v31, v74, s7, v31
	;; [unrolled: 1-line block ×6, first 2 shown]
	v_pack_b32_f16 v29, v37, v29
	v_pack_b32_f16 v25, v27, v25
	s_waitcnt vmcnt(0) lgkmcnt(0)
	s_barrier
	ds_write2_b32 v159, v29, v25 offset0:20 offset1:30
	v_lshrrev_b32_e32 v25, 16, v26
	v_mul_f16_sdwa v27, v25, v4 dst_sel:DWORD dst_unused:UNUSED_PAD src0_sel:DWORD src1_sel:WORD_1
	v_fma_f16 v27, v26, v4, -v27
	v_mul_f16_sdwa v26, v26, v4 dst_sel:DWORD dst_unused:UNUSED_PAD src0_sel:DWORD src1_sel:WORD_1
	v_fma_f16 v25, v25, v4, v26
	v_lshrrev_b32_e32 v26, 16, v28
	v_mul_f16_sdwa v29, v26, v5 dst_sel:DWORD dst_unused:UNUSED_PAD src0_sel:DWORD src1_sel:WORD_1
	v_fma_f16 v29, v28, v5, -v29
	v_mul_f16_sdwa v28, v28, v5 dst_sel:DWORD dst_unused:UNUSED_PAD src0_sel:DWORD src1_sel:WORD_1
	v_fma_f16 v26, v26, v5, v28
	;; [unrolled: 5-line block ×4, first 2 shown]
	v_fma_f16 v32, v70, s7, v69
	v_fma_f16 v38, v73, s0, v72
	;; [unrolled: 1-line block ×6, first 2 shown]
	v_add_f16_e32 v39, v29, v31
	v_add_f16_e32 v40, v27, v37
	v_lshrrev_b32_e32 v41, 16, v42
	v_pack_b32_f16 v32, v32, v38
	v_fma_f16 v39, v39, -0.5, v42
	v_fma_f16 v40, v40, -0.5, v42
	v_add_f16_e32 v42, v42, v27
	ds_write_b32 v159, v32 offset:160
	v_mad_legacy_u16 v32, v35, 50, v36
	v_add_f16_e32 v36, v41, v25
	v_add_f16_e32 v35, v42, v29
	;; [unrolled: 1-line block ×5, first 2 shown]
	ds_write2_b32 v159, v68, v78 offset1:10
	v_sub_f16_e32 v54, v27, v29
	v_add_f16_e32 v35, v35, v37
	v_add_f16_e32 v36, v36, v30
	v_sub_f16_e32 v42, v26, v28
	v_sub_f16_e32 v68, v27, v37
	;; [unrolled: 1-line block ×6, first 2 shown]
	v_pack_b32_f16 v35, v35, v36
	v_sub_f16_e32 v36, v25, v30
	v_add_f16_e32 v27, v27, v29
	v_fma_f16 v29, v42, s7, v40
	v_fma_f16 v31, v42, s0, v40
	v_add_f16_e32 v54, v54, v66
	v_sub_f16_e32 v66, v25, v26
	v_sub_f16_e32 v67, v30, v28
	v_fma_f16 v29, v36, s1, v29
	v_fma_f16 v31, v36, s12, v31
	v_add_f16_e32 v66, v66, v67
	v_add_f16_e32 v67, v26, v28
	v_fma_f16 v29, v27, s6, v29
	v_fma_f16 v27, v27, s6, v31
	v_add_f16_e32 v31, v25, v30
	v_fma_f16 v67, v67, -0.5, v41
	v_fma_f16 v31, v31, -0.5, v41
	v_sub_f16_e32 v25, v26, v25
	v_sub_f16_e32 v26, v28, v30
	v_fma_f16 v38, v36, s0, v39
	v_fma_f16 v69, v68, s7, v67
	v_add_f16_e32 v25, v25, v26
	v_fma_f16 v26, v70, s0, v31
	v_fma_f16 v28, v70, s7, v31
	;; [unrolled: 1-line block ×10, first 2 shown]
	v_pack_b32_f16 v38, v38, v69
	v_lshlrev_b32_e32 v164, 2, v32
	v_pack_b32_f16 v26, v29, v26
	v_pack_b32_f16 v25, v27, v25
	ds_write2_b32 v164, v35, v38 offset1:10
	ds_write2_b32 v164, v26, v25 offset0:20 offset1:30
	v_fma_f16 v25, v36, s7, v39
	v_lshrrev_b32_e32 v27, 16, v45
	v_mul_f16_sdwa v28, v45, v20 dst_sel:DWORD dst_unused:UNUSED_PAD src0_sel:DWORD src1_sel:WORD_1
	v_lshrrev_b32_e32 v29, 16, v48
	v_mul_f16_sdwa v30, v48, v21 dst_sel:DWORD dst_unused:UNUSED_PAD src0_sel:DWORD src1_sel:WORD_1
	;; [unrolled: 2-line block ×4, first 2 shown]
	v_fma_f16 v28, v27, v20, v28
	v_mul_f16_sdwa v27, v27, v20 dst_sel:DWORD dst_unused:UNUSED_PAD src0_sel:DWORD src1_sel:WORD_1
	v_fma_f16 v30, v29, v21, v30
	v_mul_f16_sdwa v29, v29, v21 dst_sel:DWORD dst_unused:UNUSED_PAD src0_sel:DWORD src1_sel:WORD_1
	;; [unrolled: 2-line block ×4, first 2 shown]
	v_fma_f16 v27, v45, v20, -v27
	v_fma_f16 v29, v48, v21, -v29
	;; [unrolled: 1-line block ×4, first 2 shown]
	v_fma_f16 v26, v68, s0, v67
	v_sub_f16_e32 v37, v27, v29
	v_sub_f16_e32 v38, v35, v31
	v_fma_f16 v25, v42, s12, v25
	v_fma_f16 v26, v70, s1, v26
	v_add_f16_e32 v37, v37, v38
	v_sub_f16_e32 v38, v28, v30
	v_sub_f16_e32 v39, v36, v32
	v_fma_f16 v25, v54, s6, v25
	v_fma_f16 v26, v66, s6, v26
	v_add_f16_e32 v38, v38, v39
	v_lshrrev_b32_e32 v39, 16, v43
	v_pack_b32_f16 v25, v25, v26
	v_add_f16_e32 v26, v43, v27
	v_add_f16_e32 v40, v39, v28
	;; [unrolled: 1-line block ×8, first 2 shown]
	v_pack_b32_f16 v26, v26, v40
	v_add_f16_e32 v40, v29, v31
	v_add_f16_e32 v48, v30, v32
	v_fma_f16 v40, v40, -0.5, v43
	v_sub_f16_e32 v41, v28, v36
	v_fma_f16 v48, v48, -0.5, v39
	v_sub_f16_e32 v50, v27, v35
	v_fma_f16 v42, v41, s0, v40
	v_sub_f16_e32 v45, v30, v32
	v_fma_f16 v52, v50, s7, v48
	;; [unrolled: 2-line block ×3, first 2 shown]
	v_fma_f16 v52, v54, s12, v52
	ds_write_b32 v164, v25 offset:160
	v_mad_legacy_u16 v25, v79, 50, v80
	v_fma_f16 v42, v37, s6, v42
	v_fma_f16 v52, v38, s6, v52
	v_pack_b32_f16 v42, v42, v52
	v_lshlrev_b32_e32 v165, 2, v25
	ds_write2_b32 v165, v26, v42 offset1:10
	v_add_f16_e32 v26, v27, v35
	v_sub_f16_e32 v25, v29, v27
	v_sub_f16_e32 v27, v31, v35
	v_fma_f16 v26, v26, -0.5, v43
	v_add_f16_e32 v25, v25, v27
	v_fma_f16 v27, v45, s7, v26
	v_fma_f16 v26, v45, s0, v26
	;; [unrolled: 1-line block ×6, first 2 shown]
	v_add_f16_e32 v26, v28, v36
	v_fma_f16 v26, v26, -0.5, v39
	v_sub_f16_e32 v28, v30, v28
	v_sub_f16_e32 v29, v32, v36
	v_add_f16_e32 v28, v28, v29
	v_fma_f16 v29, v54, s0, v26
	v_fma_f16 v26, v54, s7, v26
	;; [unrolled: 1-line block ×6, first 2 shown]
	v_pack_b32_f16 v27, v27, v29
	v_pack_b32_f16 v25, v25, v26
	ds_write2_b32 v165, v27, v25 offset0:20 offset1:30
	v_lshrrev_b32_e32 v25, 16, v46
	v_mul_f16_sdwa v27, v46, v16 dst_sel:DWORD dst_unused:UNUSED_PAD src0_sel:DWORD src1_sel:WORD_1
	v_mul_f16_sdwa v26, v25, v16 dst_sel:DWORD dst_unused:UNUSED_PAD src0_sel:DWORD src1_sel:WORD_1
	v_fma_f16 v25, v25, v16, v27
	v_lshrrev_b32_e32 v27, 16, v49
	v_mul_f16_sdwa v29, v49, v17 dst_sel:DWORD dst_unused:UNUSED_PAD src0_sel:DWORD src1_sel:WORD_1
	v_mul_f16_sdwa v28, v27, v17 dst_sel:DWORD dst_unused:UNUSED_PAD src0_sel:DWORD src1_sel:WORD_1
	v_fma_f16 v27, v27, v17, v29
	;; [unrolled: 4-line block ×4, first 2 shown]
	v_fma_f16 v35, v41, s7, v40
	v_fma_f16 v36, v50, s0, v48
	v_fma_f16 v26, v46, v16, -v26
	v_fma_f16 v35, v45, s12, v35
	v_fma_f16 v36, v54, s1, v36
	v_fma_f16 v28, v49, v17, -v28
	v_fma_f16 v35, v37, s6, v35
	v_fma_f16 v36, v38, s6, v36
	v_lshrrev_b32_e32 v39, 16, v44
	v_add_f16_e32 v40, v44, v26
	v_pack_b32_f16 v35, v35, v36
	v_add_f16_e32 v36, v40, v28
	v_add_f16_e32 v40, v39, v25
	v_fma_f16 v30, v51, v18, -v30
	v_fma_f16 v32, v53, v19, -v32
	v_add_f16_e32 v40, v40, v27
	v_add_f16_e32 v37, v28, v30
	;; [unrolled: 1-line block ×5, first 2 shown]
	v_fma_f16 v37, v37, -0.5, v44
	v_fma_f16 v38, v38, -0.5, v44
	v_sub_f16_e32 v41, v26, v28
	v_add_f16_e32 v36, v36, v32
	v_add_f16_e32 v40, v40, v31
	v_sub_f16_e32 v44, v27, v29
	v_sub_f16_e32 v46, v26, v32
	;; [unrolled: 1-line block ×6, first 2 shown]
	v_pack_b32_f16 v36, v36, v40
	v_sub_f16_e32 v40, v25, v31
	v_add_f16_e32 v26, v26, v28
	v_fma_f16 v28, v44, s7, v38
	v_fma_f16 v30, v44, s0, v38
	;; [unrolled: 1-line block ×4, first 2 shown]
	v_add_f16_e32 v45, v27, v29
	v_fma_f16 v28, v26, s6, v28
	v_fma_f16 v26, v26, s6, v30
	v_add_f16_e32 v30, v25, v31
	v_add_f16_e32 v41, v41, v42
	v_sub_f16_e32 v42, v25, v27
	v_sub_f16_e32 v43, v31, v29
	v_fma_f16 v45, v45, -0.5, v39
	v_fma_f16 v30, v30, -0.5, v39
	v_sub_f16_e32 v25, v27, v25
	v_sub_f16_e32 v27, v29, v31
	v_add_f16_e32 v42, v42, v43
	v_fma_f16 v43, v40, s0, v37
	v_fma_f16 v48, v46, s7, v45
	v_add_f16_e32 v25, v25, v27
	v_fma_f16 v27, v49, s0, v30
	v_fma_f16 v29, v49, s7, v30
	;; [unrolled: 1-line block ×6, first 2 shown]
	ds_write_b32 v165, v35 offset:160
	v_mad_legacy_u16 v35, v81, 50, v82
	v_fma_f16 v43, v41, s6, v43
	v_fma_f16 v48, v42, s6, v48
	;; [unrolled: 1-line block ×4, first 2 shown]
	v_pack_b32_f16 v43, v43, v48
	v_lshlrev_b32_e32 v166, 2, v35
	v_pack_b32_f16 v27, v28, v27
	v_pack_b32_f16 v25, v26, v25
	ds_write2_b32 v166, v36, v43 offset1:10
	ds_write2_b32 v166, v27, v25 offset0:20 offset1:30
	v_lshrrev_b32_e32 v27, 16, v58
	v_mul_f16_sdwa v28, v58, v12 dst_sel:DWORD dst_unused:UNUSED_PAD src0_sel:DWORD src1_sel:WORD_1
	v_lshrrev_b32_e32 v29, 16, v60
	v_mul_f16_sdwa v30, v60, v13 dst_sel:DWORD dst_unused:UNUSED_PAD src0_sel:DWORD src1_sel:WORD_1
	;; [unrolled: 2-line block ×4, first 2 shown]
	v_fma_f16 v28, v27, v12, v28
	v_mul_f16_sdwa v27, v27, v12 dst_sel:DWORD dst_unused:UNUSED_PAD src0_sel:DWORD src1_sel:WORD_1
	v_fma_f16 v30, v29, v13, v30
	v_mul_f16_sdwa v29, v29, v13 dst_sel:DWORD dst_unused:UNUSED_PAD src0_sel:DWORD src1_sel:WORD_1
	;; [unrolled: 2-line block ×4, first 2 shown]
	v_fma_f16 v27, v58, v12, -v27
	v_fma_f16 v29, v60, v13, -v29
	;; [unrolled: 1-line block ×4, first 2 shown]
	v_fma_f16 v25, v40, s7, v37
	v_fma_f16 v26, v46, s0, v45
	v_sub_f16_e32 v37, v27, v29
	v_sub_f16_e32 v38, v35, v31
	v_fma_f16 v25, v44, s12, v25
	v_fma_f16 v26, v49, s1, v26
	v_add_f16_e32 v37, v37, v38
	v_sub_f16_e32 v38, v28, v30
	v_sub_f16_e32 v39, v36, v32
	v_fma_f16 v25, v41, s6, v25
	v_fma_f16 v26, v42, s6, v26
	v_add_f16_e32 v38, v38, v39
	v_lshrrev_b32_e32 v39, 16, v56
	v_pack_b32_f16 v25, v25, v26
	v_add_f16_e32 v26, v56, v27
	v_add_f16_e32 v40, v39, v28
	;; [unrolled: 1-line block ×8, first 2 shown]
	v_pack_b32_f16 v26, v26, v40
	v_add_f16_e32 v40, v29, v31
	v_add_f16_e32 v44, v30, v32
	v_fma_f16 v40, v40, -0.5, v56
	v_sub_f16_e32 v41, v28, v36
	v_fma_f16 v44, v44, -0.5, v39
	v_sub_f16_e32 v45, v27, v35
	v_fma_f16 v42, v41, s0, v40
	v_sub_f16_e32 v43, v30, v32
	v_fma_f16 v46, v45, s7, v44
	;; [unrolled: 2-line block ×3, first 2 shown]
	v_fma_f16 v46, v48, s12, v46
	ds_write_b32 v166, v25 offset:160
	v_mad_legacy_u16 v25, v83, 50, v84
	v_fma_f16 v42, v37, s6, v42
	v_fma_f16 v46, v38, s6, v46
	v_pack_b32_f16 v42, v42, v46
	v_lshlrev_b32_e32 v167, 2, v25
	ds_write2_b32 v167, v26, v42 offset1:10
	v_add_f16_e32 v26, v27, v35
	v_sub_f16_e32 v25, v29, v27
	v_sub_f16_e32 v27, v31, v35
	v_fma_f16 v26, v26, -0.5, v56
	v_add_f16_e32 v25, v25, v27
	v_fma_f16 v27, v43, s7, v26
	v_fma_f16 v26, v43, s0, v26
	;; [unrolled: 1-line block ×6, first 2 shown]
	v_add_f16_e32 v26, v28, v36
	v_fma_f16 v26, v26, -0.5, v39
	v_sub_f16_e32 v28, v30, v28
	v_sub_f16_e32 v29, v32, v36
	v_add_f16_e32 v28, v28, v29
	v_fma_f16 v29, v48, s0, v26
	v_fma_f16 v26, v48, s7, v26
	;; [unrolled: 1-line block ×6, first 2 shown]
	v_pack_b32_f16 v27, v27, v29
	v_pack_b32_f16 v25, v25, v26
	ds_write2_b32 v167, v27, v25 offset0:20 offset1:30
	v_lshrrev_b32_e32 v25, 16, v59
	v_mul_f16_sdwa v27, v59, v8 dst_sel:DWORD dst_unused:UNUSED_PAD src0_sel:DWORD src1_sel:WORD_1
	v_mul_f16_sdwa v26, v25, v8 dst_sel:DWORD dst_unused:UNUSED_PAD src0_sel:DWORD src1_sel:WORD_1
	v_fma_f16 v25, v25, v8, v27
	v_lshrrev_b32_e32 v27, 16, v61
	v_mul_f16_sdwa v29, v61, v9 dst_sel:DWORD dst_unused:UNUSED_PAD src0_sel:DWORD src1_sel:WORD_1
	v_mul_f16_sdwa v28, v27, v9 dst_sel:DWORD dst_unused:UNUSED_PAD src0_sel:DWORD src1_sel:WORD_1
	v_fma_f16 v27, v27, v9, v29
	;; [unrolled: 4-line block ×4, first 2 shown]
	v_fma_f16 v35, v41, s7, v40
	v_fma_f16 v36, v45, s0, v44
	v_fma_f16 v26, v59, v8, -v26
	v_fma_f16 v35, v43, s12, v35
	v_fma_f16 v36, v48, s1, v36
	v_fma_f16 v28, v61, v9, -v28
	v_fma_f16 v35, v37, s6, v35
	v_fma_f16 v36, v38, s6, v36
	v_lshrrev_b32_e32 v39, 16, v57
	v_add_f16_e32 v40, v57, v26
	v_pack_b32_f16 v35, v35, v36
	v_add_f16_e32 v36, v40, v28
	v_add_f16_e32 v40, v39, v25
	v_fma_f16 v30, v63, v10, -v30
	v_fma_f16 v32, v65, v11, -v32
	v_add_f16_e32 v40, v40, v27
	v_add_f16_e32 v38, v26, v32
	;; [unrolled: 1-line block ×5, first 2 shown]
	v_fma_f16 v38, v38, -0.5, v57
	v_sub_f16_e32 v41, v26, v28
	v_add_f16_e32 v36, v36, v32
	v_add_f16_e32 v40, v40, v31
	v_sub_f16_e32 v44, v27, v29
	v_sub_f16_e32 v46, v26, v32
	;; [unrolled: 1-line block ×6, first 2 shown]
	v_pack_b32_f16 v36, v36, v40
	v_sub_f16_e32 v40, v25, v31
	v_add_f16_e32 v26, v26, v28
	v_fma_f16 v28, v44, s7, v38
	v_fma_f16 v30, v44, s0, v38
	;; [unrolled: 1-line block ×6, first 2 shown]
	v_add_f16_e32 v30, v25, v31
	v_add_f16_e32 v41, v41, v42
	v_sub_f16_e32 v42, v25, v27
	v_add_f16_e32 v45, v27, v29
	v_fma_f16 v30, v30, -0.5, v39
	v_sub_f16_e32 v25, v27, v25
	v_sub_f16_e32 v27, v29, v31
	v_sub_f16_e32 v43, v31, v29
	v_add_f16_e32 v25, v25, v27
	v_fma_f16 v27, v49, s0, v30
	v_fma_f16 v29, v49, s7, v30
	;; [unrolled: 1-line block ×4, first 2 shown]
	ds_write_b32 v167, v35 offset:160
	v_mad_legacy_u16 v35, v85, 50, v86
	v_fma_f16 v27, v25, s6, v27
	v_fma_f16 v25, v25, s6, v29
	v_fma_f16 v37, v37, -0.5, v57
	v_fma_f16 v45, v45, -0.5, v39
	v_lshlrev_b32_e32 v168, 2, v35
	v_pack_b32_f16 v27, v28, v27
	v_pack_b32_f16 v25, v26, v25
	ds_write2_b32 v168, v27, v25 offset0:20 offset1:30
	v_fma_f16 v25, v40, s7, v37
	v_fma_f16 v26, v46, s0, v45
	v_add_f16_e32 v42, v42, v43
	v_fma_f16 v25, v44, s12, v25
	v_fma_f16 v26, v49, s1, v26
	;; [unrolled: 1-line block ×4, first 2 shown]
	v_pack_b32_f16 v25, v25, v26
	ds_write_b32 v168, v25 offset:160
	v_mov_b32_e32 v25, 41
	v_mul_lo_u16_sdwa v25, v145, v25 dst_sel:DWORD dst_unused:UNUSED_PAD src0_sel:BYTE_0 src1_sel:DWORD
	v_fma_f16 v43, v40, s0, v37
	v_fma_f16 v48, v46, s7, v45
	v_lshrrev_b16_e32 v39, 11, v25
	v_fma_f16 v43, v44, s1, v43
	v_fma_f16 v48, v49, s12, v48
	v_mul_lo_u16_e32 v25, 50, v39
	v_fma_f16 v43, v41, s6, v43
	v_fma_f16 v48, v42, s6, v48
	v_sub_u16_e32 v25, v145, v25
	v_lshrrev_b16_e32 v35, 1, v75
	v_pack_b32_f16 v43, v43, v48
	v_and_b32_e32 v40, 0xff, v25
	v_mul_u32_u24_e32 v25, 0x147b, v35
	ds_write2_b32 v168, v36, v43 offset1:10
	v_lshrrev_b32_e32 v48, 17, v25
	v_lshrrev_b16_e32 v36, 1, v76
	v_mul_lo_u16_e32 v25, 50, v48
	v_mul_u32_u24_e32 v27, 0x147b, v36
	v_sub_u16_e32 v51, v75, v25
	v_lshrrev_b32_e32 v37, 17, v27
	v_lshlrev_b16_e32 v25, 3, v51
	v_mul_lo_u16_e32 v27, 50, v37
	v_add_co_u32_e32 v25, vcc, s2, v25
	v_sub_u16_e32 v38, v76, v27
	v_addc_co_u32_e32 v26, vcc, 0, v103, vcc
	v_lshlrev_b16_e32 v27, 3, v38
	v_add_co_u32_e32 v29, vcc, s2, v27
	s_waitcnt lgkmcnt(0)
	s_barrier
	v_addc_co_u32_e32 v30, vcc, 0, v103, vcc
	global_load_dwordx2 v[27:28], v[25:26], off offset:160
	s_nop 0
	global_load_dwordx2 v[25:26], v[29:30], off offset:160
	v_lshlrev_b32_e32 v29, 3, v40
	global_load_dwordx2 v[29:30], v29, s[2:3] offset:160
	v_lshrrev_b16_e32 v31, 1, v55
	ds_read2_b32 v[61:62], v133 offset0:70 offset1:205
	ds_read2_b32 v[63:64], v148 offset0:12 offset1:147
	v_mul_u32_u24_e32 v31, 0x147b, v31
	ds_read2_b32 v[65:66], v149 offset1:135
	v_lshrrev_b32_e32 v52, 17, v31
	v_mul_lo_u16_e32 v31, 50, v52
	v_sub_u16_e32 v94, v55, v31
	v_lshlrev_b16_e32 v31, 3, v94
	s_waitcnt lgkmcnt(2)
	v_lshrrev_b32_e32 v41, 16, v61
	s_waitcnt lgkmcnt(1)
	v_lshrrev_b32_e32 v43, 16, v63
	v_add_co_u32_e32 v31, vcc, s2, v31
	s_waitcnt lgkmcnt(0)
	v_lshrrev_b32_e32 v45, 16, v65
	v_addc_co_u32_e32 v32, vcc, 0, v103, vcc
	global_load_dwordx2 v[31:32], v[31:32], off offset:160
	v_mul_u32_u24_e32 v39, 0x96, v39
	s_movk_i32 s13, 0x3aee
	v_add_lshl_u32 v169, v39, v40, 2
	v_lshrrev_b16_e32 v56, 1, v96
	v_lshrrev_b16_e32 v57, 1, v95
	v_mul_u32_u24_e32 v35, 0xda75, v35
	s_waitcnt vmcnt(1)
	v_mul_f16_sdwa v42, v61, v29 dst_sel:DWORD dst_unused:UNUSED_PAD src0_sel:DWORD src1_sel:WORD_1
	v_mul_f16_sdwa v44, v63, v30 dst_sel:DWORD dst_unused:UNUSED_PAD src0_sel:DWORD src1_sel:WORD_1
	v_fma_f16 v42, v41, v29, v42
	v_fma_f16 v44, v43, v30, v44
	v_add_f16_e32 v46, v45, v42
	v_sub_f16_e32 v97, v42, v44
	v_add_f16_e32 v42, v42, v44
	v_fma_f16 v98, v42, -0.5, v45
	v_mul_f16_sdwa v41, v41, v29 dst_sel:DWORD dst_unused:UNUSED_PAD src0_sel:DWORD src1_sel:WORD_1
	v_mul_f16_sdwa v42, v43, v30 dst_sel:DWORD dst_unused:UNUSED_PAD src0_sel:DWORD src1_sel:WORD_1
	v_fma_f16 v41, v61, v29, -v41
	v_fma_f16 v42, v63, v30, -v42
	v_add_f16_e32 v46, v46, v44
	v_add_f16_e32 v44, v41, v42
	v_add_f16_e32 v43, v65, v41
	v_sub_f16_e32 v63, v41, v42
	v_fma_f16 v65, v44, -0.5, v65
	v_fma_f16 v39, v97, s13, v65
	v_fma_f16 v40, v63, s14, v98
	v_pack_b32_f16 v100, v39, v40
	v_mul_u32_u24_e32 v39, 0x147b, v56
	v_lshrrev_b32_e32 v106, 17, v39
	v_mul_lo_u16_e32 v39, 50, v106
	v_mul_u32_u24_e32 v41, 0x147b, v57
	v_sub_u16_e32 v170, v96, v39
	v_lshrrev_b32_e32 v175, 17, v41
	v_lshlrev_b16_e32 v39, 3, v170
	v_mul_lo_u16_e32 v41, 50, v175
	v_add_co_u32_e32 v39, vcc, s2, v39
	v_sub_u16_e32 v176, v95, v41
	v_addc_co_u32_e32 v40, vcc, 0, v103, vcc
	v_lshlrev_b16_e32 v41, 3, v176
	v_add_co_u32_e32 v41, vcc, s2, v41
	v_add_f16_e32 v43, v43, v42
	v_addc_co_u32_e32 v42, vcc, 0, v103, vcc
	v_add_co_u32_e32 v101, vcc, s17, v145
	v_lshrrev_b16_e32 v58, 1, v101
	v_pack_b32_f16 v99, v43, v46
	v_mul_u32_u24_e32 v43, 0x147b, v58
	v_lshrrev_b32_e32 v177, 17, v43
	v_mul_lo_u16_e32 v43, 50, v177
	v_sub_u16_e32 v178, v101, v43
	v_lshlrev_b16_e32 v43, 3, v178
	v_add_co_u32_e32 v43, vcc, s2, v43
	v_addc_co_u32_e32 v44, vcc, 0, v103, vcc
	v_add_co_u32_e32 v102, vcc, s19, v145
	v_lshrrev_b16_e32 v59, 1, v102
	v_mul_u32_u24_e32 v45, 0x147b, v59
	v_lshrrev_b32_e32 v179, 17, v45
	v_mul_lo_u16_e32 v45, 50, v179
	v_sub_u16_e32 v180, v102, v45
	v_lshlrev_b16_e32 v45, 3, v180
	v_add_co_u32_e32 v60, vcc, s2, v45
	v_addc_co_u32_e32 v61, vcc, 0, v103, vcc
	global_load_dwordx2 v[53:54], v[39:40], off offset:160
	global_load_dwordx2 v[49:50], v[41:42], off offset:160
	;; [unrolled: 1-line block ×3, first 2 shown]
	s_nop 0
	global_load_dwordx2 v[41:42], v[60:61], off offset:160
	v_add_co_u32_e32 v105, vcc, s20, v145
	v_lshrrev_b16_e32 v60, 1, v105
	v_mul_u32_u24_e32 v39, 0x147b, v60
	v_lshrrev_b32_e32 v181, 17, v39
	v_mul_lo_u16_e32 v39, 50, v181
	v_sub_u16_e32 v182, v105, v39
	v_lshlrev_b16_e32 v39, 3, v182
	v_add_co_u32_e32 v39, vcc, s2, v39
	v_addc_co_u32_e32 v40, vcc, 0, v103, vcc
	v_add_co_u32_e32 v104, vcc, s18, v145
	v_lshrrev_b16_e32 v61, 1, v104
	v_mul_u32_u24_e32 v43, 0x147b, v61
	v_lshrrev_b32_e32 v183, 17, v43
	v_mul_lo_u16_e32 v43, 50, v183
	v_sub_u16_e32 v184, v104, v43
	v_lshlrev_b16_e32 v43, 3, v184
	v_add_co_u32_e32 v67, vcc, s2, v43
	v_addc_co_u32_e32 v68, vcc, 0, v103, vcc
	global_load_dwordx2 v[43:44], v[39:40], off offset:160
	s_nop 0
	global_load_dwordx2 v[39:40], v[67:68], off offset:160
	ds_read2_b32 v[67:68], v155 offset0:14 offset1:149
	ds_read2_b32 v[69:70], v152 offset0:84 offset1:219
	;; [unrolled: 1-line block ×12, first 2 shown]
	s_waitcnt vmcnt(0) lgkmcnt(0)
	s_barrier
	ds_write2_b32 v169, v99, v100 offset1:50
	v_lshrrev_b32_e32 v99, 16, v62
	v_mul_f16_sdwa v100, v99, v31 dst_sel:DWORD dst_unused:UNUSED_PAD src0_sel:DWORD src1_sel:WORD_1
	v_fma_f16 v100, v62, v31, -v100
	v_mul_f16_sdwa v62, v62, v31 dst_sel:DWORD dst_unused:UNUSED_PAD src0_sel:DWORD src1_sel:WORD_1
	v_fma_f16 v62, v99, v31, v62
	v_lshrrev_b32_e32 v99, 16, v64
	v_mul_f16_sdwa v171, v99, v32 dst_sel:DWORD dst_unused:UNUSED_PAD src0_sel:DWORD src1_sel:WORD_1
	v_fma_f16 v171, v64, v32, -v171
	v_mul_f16_sdwa v64, v64, v32 dst_sel:DWORD dst_unused:UNUSED_PAD src0_sel:DWORD src1_sel:WORD_1
	v_fma_f16 v64, v99, v32, v64
	v_fma_f16 v65, v97, s14, v65
	;; [unrolled: 1-line block ×3, first 2 shown]
	v_add_f16_e32 v97, v100, v171
	v_lshrrev_b32_e32 v98, 16, v66
	v_fma_f16 v97, v97, -0.5, v66
	v_add_f16_e32 v66, v66, v100
	v_add_f16_e32 v99, v98, v62
	v_sub_f16_e32 v172, v62, v64
	v_add_f16_e32 v62, v62, v64
	v_add_f16_e32 v99, v99, v64
	v_fma_f16 v62, v62, -0.5, v98
	v_add_f16_e32 v64, v66, v171
	v_sub_f16_e32 v66, v100, v171
	v_pack_b32_f16 v63, v65, v63
	s_movk_i32 s17, 0x96
	ds_write_b32 v169, v63 offset:400
	v_mad_legacy_u16 v52, v52, s17, v94
	v_pack_b32_f16 v63, v64, v99
	v_fma_f16 v64, v172, s13, v97
	v_fma_f16 v65, v66, s14, v62
	v_pack_b32_f16 v64, v64, v65
	v_lshlrev_b32_e32 v171, 2, v52
	ds_write2_b32 v171, v63, v64 offset1:50
	v_fma_f16 v62, v66, s13, v62
	v_lshrrev_b32_e32 v63, 16, v69
	v_mul_f16_sdwa v64, v69, v27 dst_sel:DWORD dst_unused:UNUSED_PAD src0_sel:DWORD src1_sel:WORD_1
	v_lshrrev_b32_e32 v65, 16, v71
	v_mul_f16_sdwa v66, v71, v28 dst_sel:DWORD dst_unused:UNUSED_PAD src0_sel:DWORD src1_sel:WORD_1
	v_fma_f16 v64, v63, v27, v64
	v_fma_f16 v66, v65, v28, v66
	v_mul_f16_sdwa v63, v63, v27 dst_sel:DWORD dst_unused:UNUSED_PAD src0_sel:DWORD src1_sel:WORD_1
	v_mul_f16_sdwa v65, v65, v28 dst_sel:DWORD dst_unused:UNUSED_PAD src0_sel:DWORD src1_sel:WORD_1
	v_fma_f16 v52, v172, s14, v97
	v_lshrrev_b32_e32 v94, 16, v67
	v_fma_f16 v63, v69, v27, -v63
	v_fma_f16 v65, v71, v28, -v65
	v_add_f16_e32 v97, v94, v64
	v_sub_f16_e32 v98, v64, v66
	v_add_f16_e32 v64, v64, v66
	v_add_f16_e32 v69, v63, v65
	v_pack_b32_f16 v52, v52, v62
	v_add_f16_e32 v97, v97, v66
	v_fma_f16 v64, v64, -0.5, v94
	v_add_f16_e32 v66, v67, v63
	v_sub_f16_e32 v63, v63, v65
	ds_write_b32 v171, v52 offset:400
	v_fma_f16 v52, v69, -0.5, v67
	v_add_f16_e32 v66, v66, v65
	v_mad_legacy_u16 v48, v48, s17, v51
	v_fma_f16 v62, v98, s13, v52
	v_fma_f16 v65, v63, s14, v64
	v_pack_b32_f16 v51, v66, v97
	v_pack_b32_f16 v62, v62, v65
	v_lshlrev_b32_e32 v172, 2, v48
	ds_write2_b32 v172, v51, v62 offset1:50
	v_lshrrev_b32_e32 v48, 16, v70
	v_mul_f16_sdwa v62, v70, v25 dst_sel:DWORD dst_unused:UNUSED_PAD src0_sel:DWORD src1_sel:WORD_1
	v_mul_f16_sdwa v51, v48, v25 dst_sel:DWORD dst_unused:UNUSED_PAD src0_sel:DWORD src1_sel:WORD_1
	v_fma_f16 v48, v48, v25, v62
	v_lshrrev_b32_e32 v62, 16, v72
	v_mul_f16_sdwa v65, v62, v26 dst_sel:DWORD dst_unused:UNUSED_PAD src0_sel:DWORD src1_sel:WORD_1
	v_fma_f16 v51, v70, v25, -v51
	v_fma_f16 v65, v72, v26, -v65
	v_mul_f16_sdwa v66, v72, v26 dst_sel:DWORD dst_unused:UNUSED_PAD src0_sel:DWORD src1_sel:WORD_1
	v_fma_f16 v62, v62, v26, v66
	v_fma_f16 v63, v63, s13, v64
	v_add_f16_e32 v64, v51, v65
	v_lshrrev_b32_e32 v66, 16, v68
	v_fma_f16 v52, v98, s14, v52
	v_fma_f16 v64, v64, -0.5, v68
	v_add_f16_e32 v67, v68, v51
	v_add_f16_e32 v68, v66, v48
	v_sub_f16_e32 v69, v48, v62
	v_add_f16_e32 v48, v48, v62
	v_add_f16_e32 v68, v68, v62
	v_fma_f16 v48, v48, -0.5, v66
	v_add_f16_e32 v62, v67, v65
	v_sub_f16_e32 v51, v51, v65
	v_pack_b32_f16 v52, v52, v63
	ds_write_b32 v172, v52 offset:400
	v_mad_legacy_u16 v37, v37, s17, v38
	v_pack_b32_f16 v38, v62, v68
	v_fma_f16 v52, v69, s13, v64
	v_fma_f16 v62, v51, s14, v48
	v_pack_b32_f16 v52, v52, v62
	v_lshlrev_b32_e32 v173, 2, v37
	ds_write2_b32 v173, v38, v52 offset1:50
	v_fma_f16 v38, v51, s13, v48
	v_lshrrev_b32_e32 v48, 16, v78
	v_mul_f16_sdwa v51, v78, v53 dst_sel:DWORD dst_unused:UNUSED_PAD src0_sel:DWORD src1_sel:WORD_1
	v_lshrrev_b32_e32 v52, 16, v80
	v_mul_f16_sdwa v62, v80, v54 dst_sel:DWORD dst_unused:UNUSED_PAD src0_sel:DWORD src1_sel:WORD_1
	v_fma_f16 v51, v48, v53, v51
	v_fma_f16 v62, v52, v54, v62
	v_lshrrev_b32_e32 v63, 16, v73
	v_mul_f16_sdwa v48, v48, v53 dst_sel:DWORD dst_unused:UNUSED_PAD src0_sel:DWORD src1_sel:WORD_1
	v_mul_f16_sdwa v52, v52, v54 dst_sel:DWORD dst_unused:UNUSED_PAD src0_sel:DWORD src1_sel:WORD_1
	v_fma_f16 v37, v69, s14, v64
	v_add_f16_e32 v64, v63, v51
	v_sub_f16_e32 v65, v51, v62
	v_add_f16_e32 v51, v51, v62
	v_fma_f16 v48, v78, v53, -v48
	v_fma_f16 v52, v80, v54, -v52
	v_add_f16_e32 v64, v64, v62
	v_fma_f16 v51, v51, -0.5, v63
	v_add_f16_e32 v62, v73, v48
	v_add_f16_e32 v63, v48, v52
	;; [unrolled: 1-line block ×3, first 2 shown]
	v_sub_f16_e32 v48, v48, v52
	v_pack_b32_f16 v37, v37, v38
	v_fma_f16 v52, v63, -0.5, v73
	ds_write_b32 v173, v37 offset:400
	v_mad_legacy_u16 v37, v106, s17, v170
	v_pack_b32_f16 v38, v62, v64
	v_fma_f16 v62, v65, s13, v52
	v_fma_f16 v63, v48, s14, v51
	v_pack_b32_f16 v62, v62, v63
	v_lshlrev_b32_e32 v174, 2, v37
	ds_write2_b32 v174, v38, v62 offset1:50
	v_lshrrev_b32_e32 v37, 16, v79
	v_mul_f16_sdwa v62, v79, v49 dst_sel:DWORD dst_unused:UNUSED_PAD src0_sel:DWORD src1_sel:WORD_1
	v_mul_f16_sdwa v38, v37, v49 dst_sel:DWORD dst_unused:UNUSED_PAD src0_sel:DWORD src1_sel:WORD_1
	v_fma_f16 v37, v37, v49, v62
	v_lshrrev_b32_e32 v62, 16, v81
	v_mul_f16_sdwa v63, v62, v50 dst_sel:DWORD dst_unused:UNUSED_PAD src0_sel:DWORD src1_sel:WORD_1
	v_mul_f16_sdwa v64, v81, v50 dst_sel:DWORD dst_unused:UNUSED_PAD src0_sel:DWORD src1_sel:WORD_1
	v_fma_f16 v38, v79, v49, -v38
	v_fma_f16 v63, v81, v50, -v63
	v_fma_f16 v62, v62, v50, v64
	v_lshrrev_b32_e32 v64, 16, v74
	v_fma_f16 v52, v65, s14, v52
	v_fma_f16 v48, v48, s13, v51
	v_add_f16_e32 v51, v38, v63
	v_add_f16_e32 v65, v74, v38
	;; [unrolled: 1-line block ×3, first 2 shown]
	v_sub_f16_e32 v67, v37, v62
	v_add_f16_e32 v37, v37, v62
	v_fma_f16 v51, v51, -0.5, v74
	v_add_f16_e32 v66, v66, v62
	v_fma_f16 v37, v37, -0.5, v64
	v_add_f16_e32 v62, v65, v63
	v_sub_f16_e32 v38, v38, v63
	v_pack_b32_f16 v48, v52, v48
	ds_write_b32 v174, v48 offset:400
	v_mad_legacy_u16 v48, v175, s17, v176
	v_pack_b32_f16 v52, v62, v66
	v_fma_f16 v62, v67, s13, v51
	v_fma_f16 v63, v38, s14, v37
	v_pack_b32_f16 v62, v62, v63
	v_lshlrev_b32_e32 v175, 2, v48
	ds_write2_b32 v175, v52, v62 offset1:50
	v_fma_f16 v48, v67, s14, v51
	v_fma_f16 v37, v38, s13, v37
	v_lshrrev_b32_e32 v38, 16, v84
	v_mul_f16_sdwa v51, v84, v45 dst_sel:DWORD dst_unused:UNUSED_PAD src0_sel:DWORD src1_sel:WORD_1
	v_lshrrev_b32_e32 v52, 16, v86
	v_mul_f16_sdwa v62, v86, v46 dst_sel:DWORD dst_unused:UNUSED_PAD src0_sel:DWORD src1_sel:WORD_1
	v_fma_f16 v51, v38, v45, v51
	v_fma_f16 v62, v52, v46, v62
	v_lshrrev_b32_e32 v63, 16, v82
	v_mul_f16_sdwa v38, v38, v45 dst_sel:DWORD dst_unused:UNUSED_PAD src0_sel:DWORD src1_sel:WORD_1
	v_mul_f16_sdwa v52, v52, v46 dst_sel:DWORD dst_unused:UNUSED_PAD src0_sel:DWORD src1_sel:WORD_1
	v_add_f16_e32 v64, v63, v51
	v_sub_f16_e32 v65, v51, v62
	v_add_f16_e32 v51, v51, v62
	v_fma_f16 v38, v84, v45, -v38
	v_fma_f16 v52, v86, v46, -v52
	v_add_f16_e32 v64, v64, v62
	v_fma_f16 v51, v51, -0.5, v63
	v_add_f16_e32 v62, v82, v38
	v_add_f16_e32 v63, v38, v52
	;; [unrolled: 1-line block ×3, first 2 shown]
	v_sub_f16_e32 v38, v38, v52
	v_pack_b32_f16 v37, v48, v37
	v_fma_f16 v52, v63, -0.5, v82
	ds_write_b32 v175, v37 offset:400
	v_mad_legacy_u16 v37, v177, s17, v178
	v_pack_b32_f16 v48, v62, v64
	v_fma_f16 v62, v65, s13, v52
	v_fma_f16 v63, v38, s14, v51
	v_pack_b32_f16 v62, v62, v63
	v_lshlrev_b32_e32 v176, 2, v37
	ds_write2_b32 v176, v48, v62 offset1:50
	v_lshrrev_b32_e32 v37, 16, v85
	v_mul_f16_sdwa v62, v85, v41 dst_sel:DWORD dst_unused:UNUSED_PAD src0_sel:DWORD src1_sel:WORD_1
	v_mul_f16_sdwa v48, v37, v41 dst_sel:DWORD dst_unused:UNUSED_PAD src0_sel:DWORD src1_sel:WORD_1
	v_fma_f16 v37, v37, v41, v62
	v_lshrrev_b32_e32 v62, 16, v87
	v_mul_f16_sdwa v63, v62, v42 dst_sel:DWORD dst_unused:UNUSED_PAD src0_sel:DWORD src1_sel:WORD_1
	v_mul_f16_sdwa v64, v87, v42 dst_sel:DWORD dst_unused:UNUSED_PAD src0_sel:DWORD src1_sel:WORD_1
	v_fma_f16 v48, v85, v41, -v48
	v_fma_f16 v63, v87, v42, -v63
	v_fma_f16 v62, v62, v42, v64
	v_lshrrev_b32_e32 v64, 16, v83
	v_fma_f16 v52, v65, s14, v52
	v_fma_f16 v38, v38, s13, v51
	v_add_f16_e32 v51, v48, v63
	v_add_f16_e32 v65, v83, v48
	;; [unrolled: 1-line block ×3, first 2 shown]
	v_sub_f16_e32 v67, v37, v62
	v_add_f16_e32 v37, v37, v62
	v_fma_f16 v51, v51, -0.5, v83
	v_add_f16_e32 v66, v66, v62
	v_fma_f16 v37, v37, -0.5, v64
	v_add_f16_e32 v62, v65, v63
	v_sub_f16_e32 v48, v48, v63
	v_pack_b32_f16 v38, v52, v38
	ds_write_b32 v176, v38 offset:400
	v_mad_legacy_u16 v38, v179, s17, v180
	v_pack_b32_f16 v52, v62, v66
	v_fma_f16 v62, v67, s13, v51
	v_fma_f16 v63, v48, s14, v37
	v_pack_b32_f16 v62, v62, v63
	v_lshlrev_b32_e32 v177, 2, v38
	ds_write2_b32 v177, v52, v62 offset1:50
	v_fma_f16 v38, v67, s14, v51
	v_fma_f16 v37, v48, s13, v37
	v_lshrrev_b32_e32 v48, 16, v90
	v_mul_f16_sdwa v51, v90, v43 dst_sel:DWORD dst_unused:UNUSED_PAD src0_sel:DWORD src1_sel:WORD_1
	v_lshrrev_b32_e32 v52, 16, v92
	v_mul_f16_sdwa v62, v92, v44 dst_sel:DWORD dst_unused:UNUSED_PAD src0_sel:DWORD src1_sel:WORD_1
	v_fma_f16 v51, v48, v43, v51
	v_fma_f16 v62, v52, v44, v62
	v_lshrrev_b32_e32 v63, 16, v88
	v_mul_f16_sdwa v48, v48, v43 dst_sel:DWORD dst_unused:UNUSED_PAD src0_sel:DWORD src1_sel:WORD_1
	v_mul_f16_sdwa v52, v52, v44 dst_sel:DWORD dst_unused:UNUSED_PAD src0_sel:DWORD src1_sel:WORD_1
	v_add_f16_e32 v64, v63, v51
	v_sub_f16_e32 v65, v51, v62
	v_add_f16_e32 v51, v51, v62
	v_fma_f16 v48, v90, v43, -v48
	v_fma_f16 v52, v92, v44, -v52
	v_add_f16_e32 v64, v64, v62
	v_fma_f16 v51, v51, -0.5, v63
	v_add_f16_e32 v62, v88, v48
	v_add_f16_e32 v63, v48, v52
	;; [unrolled: 1-line block ×3, first 2 shown]
	v_sub_f16_e32 v48, v48, v52
	v_pack_b32_f16 v37, v38, v37
	v_fma_f16 v52, v63, -0.5, v88
	ds_write_b32 v177, v37 offset:400
	v_mad_legacy_u16 v37, v181, s17, v182
	v_pack_b32_f16 v38, v62, v64
	v_fma_f16 v62, v65, s13, v52
	v_fma_f16 v63, v48, s14, v51
	v_pack_b32_f16 v62, v62, v63
	v_lshlrev_b32_e32 v178, 2, v37
	ds_write2_b32 v178, v38, v62 offset1:50
	v_lshrrev_b32_e32 v37, 16, v91
	v_mul_f16_sdwa v62, v91, v39 dst_sel:DWORD dst_unused:UNUSED_PAD src0_sel:DWORD src1_sel:WORD_1
	v_mul_f16_sdwa v38, v37, v39 dst_sel:DWORD dst_unused:UNUSED_PAD src0_sel:DWORD src1_sel:WORD_1
	v_fma_f16 v37, v37, v39, v62
	v_lshrrev_b32_e32 v62, 16, v93
	v_mul_f16_sdwa v63, v62, v40 dst_sel:DWORD dst_unused:UNUSED_PAD src0_sel:DWORD src1_sel:WORD_1
	v_mul_f16_sdwa v64, v93, v40 dst_sel:DWORD dst_unused:UNUSED_PAD src0_sel:DWORD src1_sel:WORD_1
	v_fma_f16 v38, v91, v39, -v38
	v_fma_f16 v63, v93, v40, -v63
	v_fma_f16 v62, v62, v40, v64
	v_fma_f16 v52, v65, s14, v52
	;; [unrolled: 1-line block ×3, first 2 shown]
	v_lshrrev_b32_e32 v64, 16, v89
	v_add_f16_e32 v51, v38, v63
	v_add_f16_e32 v66, v64, v37
	v_sub_f16_e32 v67, v37, v62
	v_add_f16_e32 v37, v37, v62
	v_pack_b32_f16 v48, v52, v48
	v_lshrrev_b32_e32 v106, 22, v35
	v_fma_f16 v51, v51, -0.5, v89
	v_add_f16_e32 v65, v89, v38
	v_fma_f16 v37, v37, -0.5, v64
	v_sub_f16_e32 v38, v38, v63
	ds_write_b32 v178, v48 offset:400
	v_mad_legacy_u16 v48, v183, s17, v184
	v_mul_lo_u16_e32 v35, 0x96, v106
	v_add_f16_e32 v66, v66, v62
	v_add_f16_e32 v62, v65, v63
	v_fma_f16 v63, v38, s14, v37
	v_lshlrev_b32_e32 v179, 2, v48
	v_fma_f16 v48, v67, s14, v51
	v_fma_f16 v37, v38, s13, v37
	v_sub_u16_e32 v170, v75, v35
	v_pack_b32_f16 v52, v62, v66
	v_fma_f16 v62, v67, s13, v51
	v_pack_b32_f16 v37, v48, v37
	v_lshlrev_b16_e32 v35, 3, v170
	v_pack_b32_f16 v62, v62, v63
	ds_write_b32 v179, v37 offset:400
	v_add_co_u32_e32 v37, vcc, s2, v35
	v_mul_u32_u24_e32 v35, 0xda75, v36
	ds_write2_b32 v179, v52, v62 offset1:50
	v_lshrrev_b32_e32 v62, 22, v35
	v_mul_lo_u16_e32 v35, 0x96, v62
	v_sub_u16_e32 v67, v76, v35
	v_addc_co_u32_e32 v38, vcc, 0, v103, vcc
	v_lshlrev_b16_e32 v35, 3, v67
	v_add_co_u32_e32 v35, vcc, s2, v35
	v_addc_co_u32_e32 v36, vcc, 0, v103, vcc
	v_lshlrev_b32_e32 v78, 3, v145
	s_waitcnt lgkmcnt(0)
	s_barrier
	global_load_dwordx2 v[37:38], v[37:38], off offset:560
	s_nop 0
	global_load_dwordx2 v[35:36], v[35:36], off offset:560
	v_add_co_u32_e32 v48, vcc, -15, v145
	global_load_dwordx2 v[51:52], v78, s[2:3] offset:560
	v_addc_co_u32_e64 v63, s[18:19], 0, -1, vcc
	v_cmp_gt_u16_e32 vcc, 15, v145
	v_cndmask_b32_e32 v69, v63, v47, vcc
	v_cndmask_b32_e32 v68, v48, v55, vcc
	v_lshlrev_b64 v[47:48], 3, v[68:69]
	ds_read2_b32 v[79:80], v133 offset0:70 offset1:205
	v_add_co_u32_e32 v47, vcc, s2, v47
	v_addc_co_u32_e32 v48, vcc, v103, v48, vcc
	global_load_dwordx2 v[47:48], v[47:48], off offset:560
	ds_read2_b32 v[81:82], v148 offset0:12 offset1:147
	ds_read2_b32 v[83:84], v149 offset1:135
	s_waitcnt lgkmcnt(2)
	v_lshrrev_b32_e32 v63, 16, v79
	v_mul_u32_u24_e32 v56, 0xda75, v56
	v_lshrrev_b32_e32 v183, 22, v56
	s_waitcnt lgkmcnt(1)
	v_lshrrev_b32_e32 v65, 16, v81
	s_waitcnt lgkmcnt(0)
	v_lshrrev_b32_e32 v69, 16, v83
	v_mul_lo_u16_e32 v56, 0x96, v183
	v_sub_u16_e32 v184, v96, v56
	v_lshlrev_b16_e32 v56, 3, v184
	v_mul_u32_u24_e32 v58, 0xda75, v58
	v_lshrrev_b32_e32 v195, 22, v58
	v_mul_lo_u16_e32 v58, 0x96, v195
	v_sub_u16_e32 v196, v101, v58
	v_lshlrev_b16_e32 v58, 3, v196
	s_movk_i32 s17, 0x1c2
	s_movk_i32 s18, 0xffd3
	v_lshlrev_b32_e32 v75, 3, v75
	v_lshlrev_b32_e32 v96, 3, v96
	s_waitcnt vmcnt(1)
	v_mul_f16_sdwa v64, v79, v51 dst_sel:DWORD dst_unused:UNUSED_PAD src0_sel:DWORD src1_sel:WORD_1
	v_mul_f16_sdwa v66, v81, v52 dst_sel:DWORD dst_unused:UNUSED_PAD src0_sel:DWORD src1_sel:WORD_1
	v_fma_f16 v64, v63, v51, v64
	v_fma_f16 v66, v65, v52, v66
	v_add_f16_e32 v70, v69, v64
	v_sub_f16_e32 v181, v64, v66
	v_add_f16_e32 v64, v64, v66
	v_fma_f16 v182, v64, -0.5, v69
	v_mul_f16_sdwa v63, v63, v51 dst_sel:DWORD dst_unused:UNUSED_PAD src0_sel:DWORD src1_sel:WORD_1
	v_mul_f16_sdwa v64, v65, v52 dst_sel:DWORD dst_unused:UNUSED_PAD src0_sel:DWORD src1_sel:WORD_1
	v_fma_f16 v63, v79, v51, -v63
	v_fma_f16 v64, v81, v52, -v64
	v_add_f16_e32 v70, v70, v66
	v_add_f16_e32 v66, v63, v64
	;; [unrolled: 1-line block ×3, first 2 shown]
	v_sub_f16_e32 v79, v63, v64
	v_fma_f16 v83, v66, -0.5, v83
	v_add_f16_e32 v65, v65, v64
	v_fma_f16 v63, v181, s13, v83
	v_fma_f16 v64, v79, s14, v182
	v_pack_b32_f16 v180, v63, v64
	v_add_co_u32_e32 v63, vcc, s2, v56
	v_mul_u32_u24_e32 v56, 0xda75, v57
	v_lshrrev_b32_e32 v193, 22, v56
	v_mul_lo_u16_e32 v56, 0x96, v193
	v_sub_u16_e32 v194, v95, v56
	v_addc_co_u32_e32 v64, vcc, 0, v103, vcc
	v_lshlrev_b16_e32 v56, 3, v194
	v_add_co_u32_e32 v56, vcc, s2, v56
	v_addc_co_u32_e32 v57, vcc, 0, v103, vcc
	v_pack_b32_f16 v81, v65, v70
	v_add_co_u32_e32 v65, vcc, s2, v58
	v_mul_u32_u24_e32 v58, 0xda75, v59
	v_lshrrev_b32_e32 v197, 22, v58
	v_mul_lo_u16_e32 v58, 0x96, v197
	v_sub_u16_e32 v198, v102, v58
	v_addc_co_u32_e32 v66, vcc, 0, v103, vcc
	v_lshlrev_b16_e32 v58, 3, v198
	v_add_co_u32_e32 v58, vcc, s2, v58
	v_addc_co_u32_e32 v59, vcc, 0, v103, vcc
	global_load_dwordx2 v[73:74], v[63:64], off offset:560
	global_load_dwordx2 v[71:72], v[56:57], off offset:560
	;; [unrolled: 1-line block ×3, first 2 shown]
	s_nop 0
	global_load_dwordx2 v[65:66], v[58:59], off offset:560
	v_mul_u32_u24_e32 v56, 0xda75, v60
	v_lshrrev_b32_e32 v199, 22, v56
	v_mul_lo_u16_e32 v56, 0x96, v199
	v_mul_u32_u24_e32 v58, 0xda75, v61
	v_sub_u16_e32 v200, v105, v56
	v_lshrrev_b32_e32 v58, 22, v58
	v_lshlrev_b16_e32 v56, 3, v200
	v_mul_lo_u16_e32 v58, 0x96, v58
	v_add_co_u32_e32 v56, vcc, s2, v56
	v_sub_u16_e32 v61, v104, v58
	v_addc_co_u32_e32 v57, vcc, 0, v103, vcc
	v_lshlrev_b16_e32 v58, 3, v61
	v_add_co_u32_e32 v58, vcc, s2, v58
	v_addc_co_u32_e32 v59, vcc, 0, v103, vcc
	global_load_dwordx2 v[63:64], v[56:57], off offset:560
	s_nop 0
	global_load_dwordx2 v[59:60], v[58:59], off offset:560
	v_mov_b32_e32 v58, 0x1c2
	v_cmp_lt_u16_e32 vcc, 14, v145
	v_cndmask_b32_e32 v58, 0, v58, vcc
	ds_read2_b32 v[56:57], v155 offset0:14 offset1:149
	ds_read2_b32 v[85:86], v152 offset0:84 offset1:219
	;; [unrolled: 1-line block ×12, first 2 shown]
	s_waitcnt vmcnt(0) lgkmcnt(0)
	s_barrier
	ds_write2_b32 v149, v81, v180 offset1:150
	v_add_lshl_u32 v180, v68, v58, 2
	v_lshrrev_b32_e32 v58, 16, v80
	v_mul_f16_sdwa v68, v58, v47 dst_sel:DWORD dst_unused:UNUSED_PAD src0_sel:DWORD src1_sel:WORD_1
	v_fma_f16 v68, v80, v47, -v68
	v_mul_f16_sdwa v80, v80, v47 dst_sel:DWORD dst_unused:UNUSED_PAD src0_sel:DWORD src1_sel:WORD_1
	v_fma_f16 v58, v58, v47, v80
	v_lshrrev_b32_e32 v80, 16, v82
	v_mul_f16_sdwa v81, v80, v48 dst_sel:DWORD dst_unused:UNUSED_PAD src0_sel:DWORD src1_sel:WORD_1
	v_fma_f16 v81, v82, v48, -v81
	v_mul_f16_sdwa v82, v82, v48 dst_sel:DWORD dst_unused:UNUSED_PAD src0_sel:DWORD src1_sel:WORD_1
	v_fma_f16 v80, v80, v48, v82
	v_fma_f16 v82, v181, s14, v83
	v_add_f16_e32 v83, v68, v81
	v_lshrrev_b32_e32 v181, 16, v84
	v_fma_f16 v79, v79, s13, v182
	v_fma_f16 v83, v83, -0.5, v84
	v_add_f16_e32 v84, v84, v68
	v_add_f16_e32 v182, v181, v58
	v_sub_f16_e32 v201, v58, v80
	v_add_f16_e32 v58, v58, v80
	v_add_f16_e32 v182, v182, v80
	v_fma_f16 v58, v58, -0.5, v181
	v_add_f16_e32 v80, v84, v81
	v_sub_f16_e32 v68, v68, v81
	v_pack_b32_f16 v79, v82, v79
	ds_write_b32 v149, v79 offset:1200
	v_pack_b32_f16 v79, v80, v182
	v_fma_f16 v80, v201, s13, v83
	v_fma_f16 v81, v68, s14, v58
	v_pack_b32_f16 v80, v80, v81
	ds_write2_b32 v180, v79, v80 offset1:150
	v_fma_f16 v58, v68, s13, v58
	v_lshrrev_b32_e32 v68, 16, v85
	v_mul_f16_sdwa v80, v85, v37 dst_sel:DWORD dst_unused:UNUSED_PAD src0_sel:DWORD src1_sel:WORD_1
	v_lshrrev_b32_e32 v81, 16, v87
	v_mul_f16_sdwa v82, v87, v38 dst_sel:DWORD dst_unused:UNUSED_PAD src0_sel:DWORD src1_sel:WORD_1
	v_fma_f16 v79, v201, s14, v83
	v_fma_f16 v80, v68, v37, v80
	;; [unrolled: 1-line block ×3, first 2 shown]
	v_lshrrev_b32_e32 v83, 16, v56
	v_mul_f16_sdwa v68, v68, v37 dst_sel:DWORD dst_unused:UNUSED_PAD src0_sel:DWORD src1_sel:WORD_1
	v_mul_f16_sdwa v81, v81, v38 dst_sel:DWORD dst_unused:UNUSED_PAD src0_sel:DWORD src1_sel:WORD_1
	v_add_f16_e32 v84, v83, v80
	v_sub_f16_e32 v182, v80, v82
	v_add_f16_e32 v80, v80, v82
	v_fma_f16 v68, v85, v37, -v68
	v_fma_f16 v81, v87, v38, -v81
	v_add_f16_e32 v84, v84, v82
	v_fma_f16 v80, v80, -0.5, v83
	v_add_f16_e32 v82, v56, v68
	v_add_f16_e32 v83, v68, v81
	;; [unrolled: 1-line block ×3, first 2 shown]
	v_sub_f16_e32 v68, v68, v81
	v_pack_b32_f16 v58, v79, v58
	v_fma_f16 v56, v83, -0.5, v56
	ds_write_b32 v180, v58 offset:1200
	v_mad_legacy_u16 v58, v106, s17, v170
	v_pack_b32_f16 v79, v82, v84
	v_fma_f16 v81, v182, s13, v56
	v_fma_f16 v82, v68, s14, v80
	v_pack_b32_f16 v81, v81, v82
	v_lshlrev_b32_e32 v181, 2, v58
	ds_write2_b32 v181, v79, v81 offset1:150
	v_lshrrev_b32_e32 v58, 16, v86
	v_mul_f16_sdwa v81, v86, v35 dst_sel:DWORD dst_unused:UNUSED_PAD src0_sel:DWORD src1_sel:WORD_1
	v_mul_f16_sdwa v79, v58, v35 dst_sel:DWORD dst_unused:UNUSED_PAD src0_sel:DWORD src1_sel:WORD_1
	v_fma_f16 v58, v58, v35, v81
	v_lshrrev_b32_e32 v81, 16, v88
	v_mul_f16_sdwa v82, v81, v36 dst_sel:DWORD dst_unused:UNUSED_PAD src0_sel:DWORD src1_sel:WORD_1
	v_mul_f16_sdwa v83, v88, v36 dst_sel:DWORD dst_unused:UNUSED_PAD src0_sel:DWORD src1_sel:WORD_1
	v_fma_f16 v79, v86, v35, -v79
	v_fma_f16 v82, v88, v36, -v82
	v_fma_f16 v81, v81, v36, v83
	v_lshrrev_b32_e32 v83, 16, v57
	v_fma_f16 v56, v182, s14, v56
	v_fma_f16 v68, v68, s13, v80
	v_add_f16_e32 v80, v79, v82
	v_add_f16_e32 v84, v83, v58
	v_sub_f16_e32 v85, v58, v81
	v_add_f16_e32 v58, v58, v81
	v_fma_f16 v80, v80, -0.5, v57
	v_add_f16_e32 v57, v57, v79
	v_fma_f16 v58, v58, -0.5, v83
	v_sub_f16_e32 v79, v79, v82
	v_pack_b32_f16 v56, v56, v68
	v_add_f16_e32 v84, v84, v81
	v_add_f16_e32 v57, v57, v82
	ds_write_b32 v181, v56 offset:1200
	v_mad_legacy_u16 v56, v62, s17, v67
	v_fma_f16 v62, v85, s13, v80
	v_fma_f16 v67, v79, s14, v58
	v_pack_b32_f16 v57, v57, v84
	v_pack_b32_f16 v62, v62, v67
	v_lshlrev_b32_e32 v182, 2, v56
	ds_write2_b32 v182, v57, v62 offset1:150
	v_fma_f16 v57, v79, s13, v58
	v_lshrrev_b32_e32 v58, 16, v91
	v_mul_f16_sdwa v62, v91, v73 dst_sel:DWORD dst_unused:UNUSED_PAD src0_sel:DWORD src1_sel:WORD_1
	v_lshrrev_b32_e32 v67, 16, v93
	v_mul_f16_sdwa v68, v93, v74 dst_sel:DWORD dst_unused:UNUSED_PAD src0_sel:DWORD src1_sel:WORD_1
	v_fma_f16 v62, v58, v73, v62
	v_fma_f16 v68, v67, v74, v68
	v_lshrrev_b32_e32 v79, 16, v89
	v_mul_f16_sdwa v58, v58, v73 dst_sel:DWORD dst_unused:UNUSED_PAD src0_sel:DWORD src1_sel:WORD_1
	v_mul_f16_sdwa v67, v67, v74 dst_sel:DWORD dst_unused:UNUSED_PAD src0_sel:DWORD src1_sel:WORD_1
	v_fma_f16 v56, v85, s14, v80
	v_add_f16_e32 v80, v79, v62
	v_sub_f16_e32 v81, v62, v68
	v_add_f16_e32 v62, v62, v68
	v_fma_f16 v58, v91, v73, -v58
	v_fma_f16 v67, v93, v74, -v67
	v_add_f16_e32 v80, v80, v68
	v_fma_f16 v62, v62, -0.5, v79
	v_add_f16_e32 v68, v89, v58
	v_add_f16_e32 v79, v58, v67
	;; [unrolled: 1-line block ×3, first 2 shown]
	v_sub_f16_e32 v58, v58, v67
	v_pack_b32_f16 v56, v56, v57
	v_fma_f16 v67, v79, -0.5, v89
	ds_write_b32 v182, v56 offset:1200
	v_mad_legacy_u16 v56, v183, s17, v184
	v_pack_b32_f16 v57, v68, v80
	v_fma_f16 v68, v81, s13, v67
	v_fma_f16 v79, v58, s14, v62
	v_pack_b32_f16 v68, v68, v79
	v_lshlrev_b32_e32 v183, 2, v56
	ds_write2_b32 v183, v57, v68 offset1:150
	v_lshrrev_b32_e32 v56, 16, v92
	v_mul_f16_sdwa v68, v92, v71 dst_sel:DWORD dst_unused:UNUSED_PAD src0_sel:DWORD src1_sel:WORD_1
	v_mul_f16_sdwa v57, v56, v71 dst_sel:DWORD dst_unused:UNUSED_PAD src0_sel:DWORD src1_sel:WORD_1
	v_fma_f16 v56, v56, v71, v68
	v_lshrrev_b32_e32 v68, 16, v94
	v_mul_f16_sdwa v79, v68, v72 dst_sel:DWORD dst_unused:UNUSED_PAD src0_sel:DWORD src1_sel:WORD_1
	v_mul_f16_sdwa v80, v94, v72 dst_sel:DWORD dst_unused:UNUSED_PAD src0_sel:DWORD src1_sel:WORD_1
	v_fma_f16 v57, v92, v71, -v57
	v_fma_f16 v79, v94, v72, -v79
	v_fma_f16 v68, v68, v72, v80
	v_lshrrev_b32_e32 v80, 16, v90
	v_fma_f16 v67, v81, s14, v67
	v_fma_f16 v58, v58, s13, v62
	v_add_f16_e32 v62, v57, v79
	v_add_f16_e32 v81, v90, v57
	;; [unrolled: 1-line block ×3, first 2 shown]
	v_sub_f16_e32 v83, v56, v68
	v_add_f16_e32 v56, v56, v68
	v_fma_f16 v62, v62, -0.5, v90
	v_add_f16_e32 v82, v82, v68
	v_fma_f16 v56, v56, -0.5, v80
	v_add_f16_e32 v68, v81, v79
	v_sub_f16_e32 v57, v57, v79
	v_pack_b32_f16 v58, v67, v58
	ds_write_b32 v183, v58 offset:1200
	v_mad_legacy_u16 v58, v193, s17, v194
	v_pack_b32_f16 v67, v68, v82
	v_fma_f16 v68, v83, s13, v62
	v_fma_f16 v79, v57, s14, v56
	v_pack_b32_f16 v68, v68, v79
	v_lshlrev_b32_e32 v184, 2, v58
	ds_write2_b32 v184, v67, v68 offset1:150
	v_fma_f16 v58, v83, s14, v62
	v_fma_f16 v56, v57, s13, v56
	v_lshrrev_b32_e32 v57, 16, v99
	v_mul_f16_sdwa v62, v99, v69 dst_sel:DWORD dst_unused:UNUSED_PAD src0_sel:DWORD src1_sel:WORD_1
	v_lshrrev_b32_e32 v67, 16, v185
	v_mul_f16_sdwa v68, v185, v70 dst_sel:DWORD dst_unused:UNUSED_PAD src0_sel:DWORD src1_sel:WORD_1
	v_fma_f16 v62, v57, v69, v62
	v_fma_f16 v68, v67, v70, v68
	v_lshrrev_b32_e32 v79, 16, v97
	v_mul_f16_sdwa v57, v57, v69 dst_sel:DWORD dst_unused:UNUSED_PAD src0_sel:DWORD src1_sel:WORD_1
	v_mul_f16_sdwa v67, v67, v70 dst_sel:DWORD dst_unused:UNUSED_PAD src0_sel:DWORD src1_sel:WORD_1
	v_add_f16_e32 v80, v79, v62
	v_sub_f16_e32 v81, v62, v68
	v_add_f16_e32 v62, v62, v68
	v_fma_f16 v57, v99, v69, -v57
	v_fma_f16 v67, v185, v70, -v67
	v_add_f16_e32 v80, v80, v68
	v_fma_f16 v62, v62, -0.5, v79
	v_add_f16_e32 v68, v97, v57
	v_add_f16_e32 v79, v57, v67
	;; [unrolled: 1-line block ×3, first 2 shown]
	v_sub_f16_e32 v57, v57, v67
	v_pack_b32_f16 v56, v58, v56
	v_fma_f16 v67, v79, -0.5, v97
	ds_write_b32 v184, v56 offset:1200
	v_mad_legacy_u16 v56, v195, s17, v196
	v_pack_b32_f16 v58, v68, v80
	v_fma_f16 v68, v81, s13, v67
	v_fma_f16 v79, v57, s14, v62
	v_pack_b32_f16 v68, v68, v79
	v_lshlrev_b32_e32 v185, 2, v56
	ds_write2_b32 v185, v58, v68 offset1:150
	v_lshrrev_b32_e32 v56, 16, v100
	v_mul_f16_sdwa v68, v100, v65 dst_sel:DWORD dst_unused:UNUSED_PAD src0_sel:DWORD src1_sel:WORD_1
	v_mul_f16_sdwa v58, v56, v65 dst_sel:DWORD dst_unused:UNUSED_PAD src0_sel:DWORD src1_sel:WORD_1
	v_fma_f16 v56, v56, v65, v68
	v_lshrrev_b32_e32 v68, 16, v186
	v_mul_f16_sdwa v79, v68, v66 dst_sel:DWORD dst_unused:UNUSED_PAD src0_sel:DWORD src1_sel:WORD_1
	v_mul_f16_sdwa v80, v186, v66 dst_sel:DWORD dst_unused:UNUSED_PAD src0_sel:DWORD src1_sel:WORD_1
	v_fma_f16 v58, v100, v65, -v58
	v_fma_f16 v79, v186, v66, -v79
	v_fma_f16 v68, v68, v66, v80
	v_lshrrev_b32_e32 v80, 16, v98
	v_fma_f16 v67, v81, s14, v67
	v_fma_f16 v57, v57, s13, v62
	v_add_f16_e32 v62, v58, v79
	v_add_f16_e32 v81, v98, v58
	;; [unrolled: 1-line block ×3, first 2 shown]
	v_sub_f16_e32 v83, v56, v68
	v_add_f16_e32 v56, v56, v68
	v_fma_f16 v62, v62, -0.5, v98
	v_add_f16_e32 v82, v82, v68
	v_fma_f16 v56, v56, -0.5, v80
	v_add_f16_e32 v68, v81, v79
	v_sub_f16_e32 v58, v58, v79
	v_pack_b32_f16 v57, v67, v57
	ds_write_b32 v185, v57 offset:1200
	v_mad_legacy_u16 v57, v197, s17, v198
	v_pack_b32_f16 v67, v68, v82
	v_fma_f16 v68, v83, s13, v62
	v_fma_f16 v79, v58, s14, v56
	v_pack_b32_f16 v68, v68, v79
	v_lshlrev_b32_e32 v186, 2, v57
	ds_write2_b32 v186, v67, v68 offset1:150
	v_fma_f16 v57, v83, s14, v62
	v_fma_f16 v56, v58, s13, v56
	v_lshrrev_b32_e32 v58, 16, v189
	v_mul_f16_sdwa v62, v189, v63 dst_sel:DWORD dst_unused:UNUSED_PAD src0_sel:DWORD src1_sel:WORD_1
	v_lshrrev_b32_e32 v67, 16, v191
	v_mul_f16_sdwa v68, v191, v64 dst_sel:DWORD dst_unused:UNUSED_PAD src0_sel:DWORD src1_sel:WORD_1
	v_fma_f16 v62, v58, v63, v62
	v_fma_f16 v68, v67, v64, v68
	v_lshrrev_b32_e32 v79, 16, v187
	v_mul_f16_sdwa v58, v58, v63 dst_sel:DWORD dst_unused:UNUSED_PAD src0_sel:DWORD src1_sel:WORD_1
	v_mul_f16_sdwa v67, v67, v64 dst_sel:DWORD dst_unused:UNUSED_PAD src0_sel:DWORD src1_sel:WORD_1
	v_add_f16_e32 v80, v79, v62
	v_sub_f16_e32 v81, v62, v68
	v_add_f16_e32 v62, v62, v68
	v_fma_f16 v58, v189, v63, -v58
	v_fma_f16 v67, v191, v64, -v67
	v_add_f16_e32 v80, v80, v68
	v_fma_f16 v62, v62, -0.5, v79
	v_add_f16_e32 v68, v187, v58
	v_add_f16_e32 v79, v58, v67
	;; [unrolled: 1-line block ×3, first 2 shown]
	v_sub_f16_e32 v58, v58, v67
	v_pack_b32_f16 v56, v57, v56
	v_fma_f16 v67, v79, -0.5, v187
	ds_write_b32 v186, v56 offset:1200
	v_mad_legacy_u16 v56, v199, s17, v200
	v_pack_b32_f16 v57, v68, v80
	v_fma_f16 v68, v81, s13, v67
	v_fma_f16 v79, v58, s14, v62
	v_pack_b32_f16 v68, v68, v79
	v_lshlrev_b32_e32 v187, 2, v56
	ds_write2_b32 v187, v57, v68 offset1:150
	v_lshrrev_b32_e32 v56, 16, v190
	v_mul_f16_sdwa v68, v190, v59 dst_sel:DWORD dst_unused:UNUSED_PAD src0_sel:DWORD src1_sel:WORD_1
	v_mul_f16_sdwa v57, v56, v59 dst_sel:DWORD dst_unused:UNUSED_PAD src0_sel:DWORD src1_sel:WORD_1
	v_fma_f16 v56, v56, v59, v68
	v_lshrrev_b32_e32 v68, 16, v192
	v_mul_f16_sdwa v79, v68, v60 dst_sel:DWORD dst_unused:UNUSED_PAD src0_sel:DWORD src1_sel:WORD_1
	v_mul_f16_sdwa v80, v192, v60 dst_sel:DWORD dst_unused:UNUSED_PAD src0_sel:DWORD src1_sel:WORD_1
	v_fma_f16 v57, v190, v59, -v57
	v_fma_f16 v79, v192, v60, -v79
	v_fma_f16 v68, v68, v60, v80
	v_lshrrev_b32_e32 v80, 16, v188
	v_fma_f16 v67, v81, s14, v67
	v_fma_f16 v58, v58, s13, v62
	v_add_f16_e32 v62, v57, v79
	v_add_f16_e32 v81, v188, v57
	v_add_f16_e32 v82, v80, v56
	v_sub_f16_e32 v83, v56, v68
	v_add_f16_e32 v56, v56, v68
	v_fma_f16 v62, v62, -0.5, v188
	v_add_f16_e32 v82, v82, v68
	v_fma_f16 v56, v56, -0.5, v80
	v_add_f16_e32 v68, v81, v79
	v_sub_f16_e32 v57, v57, v79
	v_pack_b32_f16 v58, v67, v58
	ds_write_b32 v187, v58 offset:1200
	v_pack_b32_f16 v58, v68, v82
	v_fma_f16 v67, v83, s13, v62
	v_fma_f16 v68, v57, s14, v56
	v_lshlrev_b32_e32 v188, 2, v61
	v_pack_b32_f16 v67, v67, v68
	v_add_u32_e32 v189, 0x3800, v188
	ds_write2_b32 v189, v58, v67 offset0:16 offset1:166
	v_fma_f16 v58, v83, s14, v62
	v_fma_f16 v56, v57, s13, v56
	v_pack_b32_f16 v56, v58, v56
	ds_write_b32 v188, v56 offset:15600
	s_waitcnt lgkmcnt(0)
	s_barrier
	global_load_dwordx2 v[61:62], v78, s[2:3] offset:1760
	v_lshlrev_b32_e32 v81, 3, v55
	global_load_dwordx2 v[67:68], v81, s[2:3] offset:1760
	global_load_dwordx2 v[57:58], v78, s[2:3] offset:2480
	;; [unrolled: 1-line block ×3, first 2 shown]
	v_add_co_u32_e32 v79, vcc, s18, v145
	v_addc_co_u32_e64 v80, s[18:19], 0, -1, vcc
	v_cmp_gt_u16_e32 vcc, 45, v145
	v_cndmask_b32_e32 v83, v80, v77, vcc
	v_cndmask_b32_e32 v82, v79, v76, vcc
	v_lshlrev_b64 v[79:80], 3, v[82:83]
	ds_read2_b32 v[83:84], v133 offset0:70 offset1:205
	v_add_co_u32_e32 v85, vcc, s2, v79
	s_mov_b32 s18, 0x91a3
	v_addc_co_u32_e32 v86, vcc, v103, v80, vcc
	s_waitcnt lgkmcnt(0)
	v_lshrrev_b32_e32 v77, 16, v83
	v_lshrrev_b32_e32 v98, 16, v84
	ds_read2_b32 v[87:88], v148 offset0:12 offset1:147
	v_lshlrev_b32_e32 v95, 3, v95
	s_waitcnt vmcnt(3)
	v_mul_f16_sdwa v79, v83, v61 dst_sel:DWORD dst_unused:UNUSED_PAD src0_sel:DWORD src1_sel:WORD_1
	v_fma_f16 v97, v77, v61, v79
	s_waitcnt vmcnt(2)
	v_mul_f16_sdwa v79, v98, v67 dst_sel:DWORD dst_unused:UNUSED_PAD src0_sel:DWORD src1_sel:WORD_1
	v_fma_f16 v106, v84, v67, -v79
	v_mul_u32_u24_sdwa v79, v101, s18 dst_sel:DWORD dst_unused:UNUSED_PAD src0_sel:WORD_0 src1_sel:DWORD
	v_lshrrev_b32_e32 v209, 24, v79
	v_mul_f16_sdwa v77, v77, v61 dst_sel:DWORD dst_unused:UNUSED_PAD src0_sel:DWORD src1_sel:WORD_1
	v_mul_lo_u16_e32 v79, 0x1c2, v209
	v_fma_f16 v77, v83, v61, -v77
	v_sub_u16_e32 v210, v101, v79
	v_mul_u32_u24_sdwa v83, v102, s18 dst_sel:DWORD dst_unused:UNUSED_PAD src0_sel:WORD_0 src1_sel:DWORD
	v_lshlrev_b16_e32 v79, 3, v210
	v_mul_lo_u16_sdwa v83, v83, s17 dst_sel:DWORD dst_unused:UNUSED_PAD src0_sel:BYTE_3 src1_sel:DWORD
	v_add_co_u32_e32 v79, vcc, s2, v79
	v_sub_u16_e32 v211, v102, v83
	v_addc_co_u32_e32 v80, vcc, 0, v103, vcc
	v_lshlrev_b16_e32 v83, 3, v211
	v_add_co_u32_e32 v89, vcc, s2, v83
	v_mul_f16_sdwa v99, v84, v67 dst_sel:DWORD dst_unused:UNUSED_PAD src0_sel:DWORD src1_sel:WORD_1
	v_addc_co_u32_e32 v90, vcc, 0, v103, vcc
	global_load_dwordx2 v[83:84], v[79:80], off offset:1760
	s_nop 0
	global_load_dwordx2 v[79:80], v[89:90], off offset:1760
	global_load_dwordx2 v[91:92], v[85:86], off offset:1760
	global_load_dwordx2 v[93:94], v75, s[2:3] offset:1760
	s_waitcnt lgkmcnt(0)
	v_lshrrev_b32_e32 v85, 16, v87
	v_mul_f16_sdwa v86, v87, v62 dst_sel:DWORD dst_unused:UNUSED_PAD src0_sel:DWORD src1_sel:WORD_1
	v_fma_f16 v89, v85, v62, v86
	v_mul_f16_sdwa v85, v85, v62 dst_sel:DWORD dst_unused:UNUSED_PAD src0_sel:DWORD src1_sel:WORD_1
	v_fma_f16 v87, v87, v62, -v85
	ds_read2_b32 v[85:86], v149 offset1:135
	v_lshrrev_b32_e32 v90, 16, v88
	v_fma_f16 v170, v98, v67, v99
	v_mul_f16_sdwa v98, v90, v68 dst_sel:DWORD dst_unused:UNUSED_PAD src0_sel:DWORD src1_sel:WORD_1
	v_fma_f16 v190, v88, v68, -v98
	v_mul_f16_sdwa v88, v88, v68 dst_sel:DWORD dst_unused:UNUSED_PAD src0_sel:DWORD src1_sel:WORD_1
	v_fma_f16 v212, v90, v68, v88
	v_add_f16_e32 v88, v77, v87
	s_waitcnt lgkmcnt(0)
	v_fma_f16 v88, v88, -0.5, v85
	v_sub_f16_e32 v90, v97, v89
	v_fma_f16 v98, v90, s13, v88
	v_fma_f16 v213, v90, s14, v88
	v_lshrrev_b32_e32 v88, 16, v85
	v_add_f16_e32 v90, v88, v97
	v_add_f16_e32 v85, v85, v77
	;; [unrolled: 1-line block ×5, first 2 shown]
	v_fma_f16 v88, v89, -0.5, v88
	v_sub_f16_e32 v77, v77, v87
	v_pack_b32_f16 v217, v85, v90
	v_mul_u32_u24_sdwa v85, v105, s18 dst_sel:DWORD dst_unused:UNUSED_PAD src0_sel:WORD_0 src1_sel:DWORD
	v_fma_f16 v87, v77, s14, v88
	v_mul_lo_u16_sdwa v85, v85, s17 dst_sel:DWORD dst_unused:UNUSED_PAD src0_sel:BYTE_3 src1_sel:DWORD
	v_pack_b32_f16 v218, v98, v87
	v_sub_u16_e32 v219, v105, v85
	v_mul_u32_u24_sdwa v87, v104, s18 dst_sel:DWORD dst_unused:UNUSED_PAD src0_sel:WORD_0 src1_sel:DWORD
	v_lshlrev_b16_e32 v85, 3, v219
	v_mul_lo_u16_sdwa v87, v87, s17 dst_sel:DWORD dst_unused:UNUSED_PAD src0_sel:BYTE_3 src1_sel:DWORD
	v_fma_f16 v77, v77, s13, v88
	v_add_f16_e32 v88, v106, v190
	v_add_co_u32_e32 v85, vcc, s2, v85
	v_sub_u16_e32 v220, v104, v87
	v_fma_f16 v214, v88, -0.5, v86
	v_lshrrev_b32_e32 v215, 16, v86
	v_add_f16_e32 v216, v86, v106
	v_addc_co_u32_e32 v86, vcc, 0, v103, vcc
	v_lshlrev_b16_e32 v87, 3, v220
	v_add_co_u32_e32 v87, vcc, s2, v87
	v_addc_co_u32_e32 v88, vcc, 0, v103, vcc
	global_load_dwordx2 v[89:90], v[85:86], off offset:1760
	s_nop 0
	global_load_dwordx2 v[87:88], v[87:88], off offset:1760
	v_pack_b32_f16 v77, v213, v77
	v_add_f16_e32 v213, v215, v170
	ds_read2_b32 v[85:86], v155 offset0:14 offset1:149
	ds_read2_b32 v[97:98], v152 offset0:84 offset1:219
	;; [unrolled: 1-line block ×12, first 2 shown]
	s_waitcnt vmcnt(0) lgkmcnt(0)
	s_barrier
	ds_write_b32 v149, v77 offset:3600
	v_add_f16_e32 v77, v216, v190
	v_add_f16_e32 v213, v213, v212
	v_pack_b32_f16 v77, v77, v213
	ds_write_b32 v149, v218 offset:1800
	ds_write2_b32 v149, v217, v77 offset1:135
	v_sub_f16_e32 v77, v170, v212
	v_add_f16_e32 v170, v170, v212
	v_sub_f16_e32 v106, v106, v190
	v_lshrrev_b32_e32 v190, 16, v97
	v_lshrrev_b32_e32 v213, 16, v99
	v_fma_f16 v170, v170, -0.5, v215
	v_lshrrev_b32_e32 v216, 16, v85
	v_cmp_lt_u16_e32 vcc, 44, v145
	s_movk_i32 s3, 0x546
	v_lshlrev_b32_e32 v105, 3, v105
	v_lshlrev_b32_e32 v104, 3, v104
	v_mul_f16_sdwa v212, v97, v93 dst_sel:DWORD dst_unused:UNUSED_PAD src0_sel:DWORD src1_sel:WORD_1
	v_fma_f16 v212, v190, v93, v212
	v_mul_f16_sdwa v190, v190, v93 dst_sel:DWORD dst_unused:UNUSED_PAD src0_sel:DWORD src1_sel:WORD_1
	v_mul_f16_sdwa v215, v99, v94 dst_sel:DWORD dst_unused:UNUSED_PAD src0_sel:DWORD src1_sel:WORD_1
	v_fma_f16 v97, v97, v93, -v190
	v_mul_f16_sdwa v190, v213, v94 dst_sel:DWORD dst_unused:UNUSED_PAD src0_sel:DWORD src1_sel:WORD_1
	v_fma_f16 v215, v213, v94, v215
	v_add_f16_e32 v217, v216, v212
	v_fma_f16 v99, v99, v94, -v190
	v_add_f16_e32 v190, v85, v97
	v_add_f16_e32 v217, v217, v215
	v_sub_f16_e32 v218, v212, v215
	v_add_f16_e32 v212, v212, v215
	v_add_f16_e32 v190, v190, v99
	;; [unrolled: 1-line block ×3, first 2 shown]
	v_fma_f16 v212, v212, -0.5, v216
	v_sub_f16_e32 v97, v97, v99
	v_pack_b32_f16 v190, v190, v217
	v_fma_f16 v85, v213, -0.5, v85
	v_fma_f16 v99, v77, s13, v214
	v_fma_f16 v215, v106, s14, v170
	ds_write_b32 v149, v190 offset:1080
	v_fma_f16 v190, v218, s13, v85
	v_fma_f16 v213, v97, s14, v212
	v_pack_b32_f16 v99, v99, v215
	v_pack_b32_f16 v190, v190, v213
	ds_write2_b32 v135, v99, v190 offset0:73 offset1:208
	v_fma_f16 v77, v77, s14, v214
	v_fma_f16 v99, v106, s13, v170
	;; [unrolled: 1-line block ×4, first 2 shown]
	v_pack_b32_f16 v77, v77, v99
	v_pack_b32_f16 v85, v85, v97
	ds_write2_b32 v153, v77, v85 offset0:11 offset1:146
	v_mov_b32_e32 v77, 0x546
	v_cndmask_b32_e32 v77, 0, v77, vcc
	v_add_lshl_u32 v190, v82, v77, 2
	v_lshrrev_b32_e32 v77, 16, v98
	v_mul_f16_sdwa v82, v77, v91 dst_sel:DWORD dst_unused:UNUSED_PAD src0_sel:DWORD src1_sel:WORD_1
	v_mul_f16_sdwa v85, v98, v91 dst_sel:DWORD dst_unused:UNUSED_PAD src0_sel:DWORD src1_sel:WORD_1
	v_fma_f16 v82, v98, v91, -v82
	v_fma_f16 v77, v77, v91, v85
	v_lshrrev_b32_e32 v85, 16, v100
	v_mul_f16_sdwa v98, v100, v92 dst_sel:DWORD dst_unused:UNUSED_PAD src0_sel:DWORD src1_sel:WORD_1
	v_mul_f16_sdwa v97, v85, v92 dst_sel:DWORD dst_unused:UNUSED_PAD src0_sel:DWORD src1_sel:WORD_1
	v_fma_f16 v85, v85, v92, v98
	v_lshrrev_b32_e32 v98, 16, v193
	v_mul_f16_sdwa v99, v193, v57 dst_sel:DWORD dst_unused:UNUSED_PAD src0_sel:DWORD src1_sel:WORD_1
	v_fma_f16 v97, v100, v92, -v97
	v_fma_f16 v99, v98, v57, v99
	v_mul_f16_sdwa v98, v98, v57 dst_sel:DWORD dst_unused:UNUSED_PAD src0_sel:DWORD src1_sel:WORD_1
	v_lshrrev_b32_e32 v100, 16, v194
	v_mul_f16_sdwa v170, v194, v55 dst_sel:DWORD dst_unused:UNUSED_PAD src0_sel:DWORD src1_sel:WORD_1
	v_fma_f16 v98, v193, v57, -v98
	v_mul_f16_sdwa v106, v100, v55 dst_sel:DWORD dst_unused:UNUSED_PAD src0_sel:DWORD src1_sel:WORD_1
	v_fma_f16 v100, v100, v55, v170
	v_lshrrev_b32_e32 v170, 16, v195
	v_mul_f16_sdwa v193, v195, v58 dst_sel:DWORD dst_unused:UNUSED_PAD src0_sel:DWORD src1_sel:WORD_1
	v_fma_f16 v193, v170, v58, v193
	v_mul_f16_sdwa v170, v170, v58 dst_sel:DWORD dst_unused:UNUSED_PAD src0_sel:DWORD src1_sel:WORD_1
	v_fma_f16 v106, v194, v55, -v106
	v_fma_f16 v194, v195, v58, -v170
	v_lshrrev_b32_e32 v170, 16, v196
	v_mul_f16_sdwa v195, v170, v56 dst_sel:DWORD dst_unused:UNUSED_PAD src0_sel:DWORD src1_sel:WORD_1
	v_fma_f16 v195, v196, v56, -v195
	v_mul_f16_sdwa v196, v196, v56 dst_sel:DWORD dst_unused:UNUSED_PAD src0_sel:DWORD src1_sel:WORD_1
	v_fma_f16 v196, v170, v56, v196
	v_add_f16_e32 v170, v82, v97
	v_fma_f16 v170, v170, -0.5, v86
	v_lshrrev_b32_e32 v212, 16, v86
	v_sub_f16_e32 v213, v77, v85
	v_add_f16_e32 v86, v86, v82
	v_fma_f16 v214, v213, s13, v170
	v_fma_f16 v170, v213, s14, v170
	v_add_f16_e32 v213, v212, v77
	v_add_f16_e32 v77, v77, v85
	;; [unrolled: 1-line block ×3, first 2 shown]
	v_fma_f16 v77, v77, -0.5, v212
	v_add_f16_e32 v85, v86, v97
	v_sub_f16_e32 v82, v82, v97
	v_fma_f16 v86, v82, s14, v77
	v_pack_b32_f16 v85, v85, v213
	v_fma_f16 v77, v82, s13, v77
	v_add_f16_e32 v82, v98, v194
	v_lshrrev_b32_e32 v212, 16, v191
	ds_write_b32 v190, v85
	v_pack_b32_f16 v85, v214, v86
	v_fma_f16 v82, v82, -0.5, v191
	v_add_f16_e32 v97, v106, v195
	v_lshrrev_b32_e32 v215, 16, v192
	v_add_f16_e32 v191, v191, v98
	ds_write_b32 v190, v85 offset:1800
	v_pack_b32_f16 v77, v170, v77
	v_add_f16_e32 v85, v212, v99
	v_fma_f16 v97, v97, -0.5, v192
	v_add_f16_e32 v192, v192, v106
	ds_write_b32 v190, v77 offset:3600
	v_add_f16_e32 v77, v191, v194
	v_add_f16_e32 v85, v85, v193
	;; [unrolled: 1-line block ×3, first 2 shown]
	v_pack_b32_f16 v77, v77, v85
	v_add_f16_e32 v85, v192, v195
	v_add_f16_e32 v86, v86, v196
	v_pack_b32_f16 v85, v85, v86
	v_add_u32_e32 v170, 0x1600, v149
	ds_write2_b32 v170, v77, v85 offset0:32 offset1:167
	v_add_f16_e32 v85, v99, v193
	v_sub_f16_e32 v77, v99, v193
	v_fma_f16 v85, v85, -0.5, v212
	v_sub_f16_e32 v86, v98, v194
	v_add_f16_e32 v99, v100, v196
	v_sub_f16_e32 v98, v100, v196
	v_fma_f16 v99, v99, -0.5, v215
	v_sub_f16_e32 v100, v106, v195
	v_fma_f16 v106, v77, s13, v82
	v_fma_f16 v191, v86, s14, v85
	v_pack_b32_f16 v106, v106, v191
	v_fma_f16 v191, v98, s13, v97
	v_fma_f16 v192, v100, s14, v99
	v_pack_b32_f16 v191, v191, v192
	v_fma_f16 v77, v77, s14, v82
	v_fma_f16 v82, v86, s13, v85
	;; [unrolled: 1-line block ×4, first 2 shown]
	ds_write2_b32 v151, v106, v191 offset0:98 offset1:233
	v_pack_b32_f16 v77, v77, v82
	v_pack_b32_f16 v82, v85, v86
	v_add_u32_e32 v191, 0x2400, v149
	v_lshrrev_b32_e32 v85, 16, v200
	v_mul_f16_sdwa v97, v200, v79 dst_sel:DWORD dst_unused:UNUSED_PAD src0_sel:DWORD src1_sel:WORD_1
	ds_write2_b32 v191, v77, v82 offset0:36 offset1:171
	v_lshrrev_b32_e32 v77, 16, v199
	v_mul_f16_sdwa v82, v199, v83 dst_sel:DWORD dst_unused:UNUSED_PAD src0_sel:DWORD src1_sel:WORD_1
	v_mul_f16_sdwa v86, v85, v79 dst_sel:DWORD dst_unused:UNUSED_PAD src0_sel:DWORD src1_sel:WORD_1
	v_fma_f16 v85, v85, v79, v97
	v_lshrrev_b32_e32 v97, 16, v201
	v_mul_f16_sdwa v98, v201, v84 dst_sel:DWORD dst_unused:UNUSED_PAD src0_sel:DWORD src1_sel:WORD_1
	v_fma_f16 v82, v77, v83, v82
	v_mul_f16_sdwa v77, v77, v83 dst_sel:DWORD dst_unused:UNUSED_PAD src0_sel:DWORD src1_sel:WORD_1
	v_fma_f16 v98, v97, v84, v98
	v_mul_f16_sdwa v97, v97, v84 dst_sel:DWORD dst_unused:UNUSED_PAD src0_sel:DWORD src1_sel:WORD_1
	v_fma_f16 v77, v199, v83, -v77
	v_fma_f16 v97, v201, v84, -v97
	v_lshrrev_b32_e32 v99, 16, v202
	v_mul_f16_sdwa v106, v202, v80 dst_sel:DWORD dst_unused:UNUSED_PAD src0_sel:DWORD src1_sel:WORD_1
	v_lshrrev_b32_e32 v199, 16, v208
	v_mul_f16_sdwa v201, v208, v88 dst_sel:DWORD dst_unused:UNUSED_PAD src0_sel:DWORD src1_sel:WORD_1
	v_fma_f16 v86, v200, v79, -v86
	v_mul_f16_sdwa v100, v99, v80 dst_sel:DWORD dst_unused:UNUSED_PAD src0_sel:DWORD src1_sel:WORD_1
	v_fma_f16 v99, v99, v80, v106
	v_lshrrev_b32_e32 v106, 16, v205
	v_mul_f16_sdwa v192, v205, v89 dst_sel:DWORD dst_unused:UNUSED_PAD src0_sel:DWORD src1_sel:WORD_1
	v_mul_f16_sdwa v200, v199, v88 dst_sel:DWORD dst_unused:UNUSED_PAD src0_sel:DWORD src1_sel:WORD_1
	v_fma_f16 v199, v199, v88, v201
	v_add_f16_e32 v201, v77, v97
	v_fma_f16 v100, v202, v80, -v100
	v_fma_f16 v192, v106, v89, v192
	v_mul_f16_sdwa v106, v106, v89 dst_sel:DWORD dst_unused:UNUSED_PAD src0_sel:DWORD src1_sel:WORD_1
	v_lshrrev_b32_e32 v193, 16, v206
	v_fma_f16 v201, v201, -0.5, v197
	v_sub_f16_e32 v202, v82, v98
	v_fma_f16 v106, v205, v89, -v106
	v_mul_f16_sdwa v194, v193, v87 dst_sel:DWORD dst_unused:UNUSED_PAD src0_sel:DWORD src1_sel:WORD_1
	v_fma_f16 v205, v202, s13, v201
	v_fma_f16 v201, v202, s14, v201
	v_lshrrev_b32_e32 v202, 16, v197
	v_fma_f16 v194, v206, v87, -v194
	v_mul_f16_sdwa v195, v206, v87 dst_sel:DWORD dst_unused:UNUSED_PAD src0_sel:DWORD src1_sel:WORD_1
	v_add_f16_e32 v206, v202, v82
	v_add_f16_e32 v82, v82, v98
	;; [unrolled: 1-line block ×3, first 2 shown]
	v_fma_f16 v82, v82, -0.5, v202
	v_add_f16_e32 v98, v197, v77
	v_sub_f16_e32 v77, v77, v97
	v_fma_f16 v193, v193, v87, v195
	v_lshrrev_b32_e32 v195, 16, v207
	v_mul_f16_sdwa v196, v207, v90 dst_sel:DWORD dst_unused:UNUSED_PAD src0_sel:DWORD src1_sel:WORD_1
	v_add_f16_e32 v98, v98, v97
	v_fma_f16 v97, v77, s14, v82
	v_fma_f16 v77, v77, s13, v82
	v_add_f16_e32 v82, v86, v100
	v_fma_f16 v196, v195, v90, v196
	v_mul_f16_sdwa v195, v195, v90 dst_sel:DWORD dst_unused:UNUSED_PAD src0_sel:DWORD src1_sel:WORD_1
	v_fma_f16 v82, v82, -0.5, v198
	v_lshrrev_b32_e32 v197, 16, v198
	v_sub_f16_e32 v202, v85, v99
	v_fma_f16 v195, v207, v90, -v195
	v_fma_f16 v207, v202, s13, v82
	v_fma_f16 v82, v202, s14, v82
	v_add_f16_e32 v202, v197, v85
	v_add_f16_e32 v85, v85, v99
	;; [unrolled: 1-line block ×3, first 2 shown]
	v_fma_f16 v85, v85, -0.5, v197
	v_sub_f16_e32 v86, v86, v100
	v_add_f16_e32 v202, v202, v99
	v_add_f16_e32 v99, v198, v100
	v_fma_f16 v100, v86, s14, v85
	v_fma_f16 v85, v86, s13, v85
	v_add_f16_e32 v86, v106, v195
	v_fma_f16 v86, v86, -0.5, v203
	v_sub_f16_e32 v197, v192, v196
	v_fma_f16 v198, v197, s13, v86
	v_fma_f16 v86, v197, s14, v86
	v_lshrrev_b32_e32 v197, 16, v203
	v_fma_f16 v200, v208, v88, -v200
	v_add_f16_e32 v208, v197, v192
	v_add_f16_e32 v192, v192, v196
	;; [unrolled: 1-line block ×3, first 2 shown]
	v_fma_f16 v192, v192, -0.5, v197
	v_add_f16_e32 v196, v203, v106
	v_sub_f16_e32 v106, v106, v195
	v_fma_f16 v197, v106, s14, v192
	v_fma_f16 v106, v106, s13, v192
	v_add_f16_e32 v192, v194, v200
	v_add_f16_e32 v196, v196, v195
	v_fma_f16 v192, v192, -0.5, v204
	v_lshrrev_b32_e32 v195, 16, v204
	v_add_f16_e32 v203, v204, v194
	v_sub_f16_e32 v204, v193, v199
	v_fma_f16 v212, v204, s13, v192
	v_fma_f16 v204, v204, s14, v192
	v_add_f16_e32 v192, v195, v193
	v_add_f16_e32 v193, v193, v199
	v_fma_f16 v193, v193, -0.5, v195
	v_sub_f16_e32 v194, v194, v200
	v_add_f16_e32 v192, v192, v199
	v_add_f16_e32 v199, v203, v200
	v_fma_f16 v200, v194, s14, v193
	v_fma_f16 v203, v194, s13, v193
	v_mad_legacy_u16 v193, v209, s3, v210
	v_lshlrev_b32_e32 v195, 2, v193
	v_pack_b32_f16 v77, v201, v77
	v_pack_b32_f16 v98, v98, v206
	;; [unrolled: 1-line block ×3, first 2 shown]
	ds_write_b32 v195, v77 offset:3600
	v_pack_b32_f16 v77, v99, v202
	v_lshlrev_b32_e32 v194, 2, v211
	ds_write_b32 v195, v98
	ds_write_b32 v195, v97 offset:1800
	ds_write_b32 v194, v77 offset:10800
	v_pack_b32_f16 v77, v207, v100
	ds_write_b32 v194, v77 offset:12600
	v_pack_b32_f16 v77, v82, v85
	;; [unrolled: 2-line block ×3, first 2 shown]
	v_lshlrev_b32_e32 v193, 2, v219
	ds_write_b32 v193, v77 offset:10800
	v_pack_b32_f16 v77, v198, v197
	ds_write_b32 v193, v77 offset:12600
	v_pack_b32_f16 v77, v86, v106
	;; [unrolled: 2-line block ×3, first 2 shown]
	v_lshlrev_b32_e32 v192, 2, v220
	ds_write_b32 v192, v77 offset:10800
	v_pack_b32_f16 v77, v212, v200
	ds_write_b32 v192, v77 offset:12600
	v_pack_b32_f16 v77, v204, v203
	ds_write_b32 v192, v77 offset:14400
	v_add_co_u32_e32 v77, vcc, s2, v78
	v_addc_co_u32_e32 v78, vcc, 0, v103, vcc
	v_add_co_u32_e32 v77, vcc, s16, v77
	v_addc_co_u32_e32 v78, vcc, 0, v78, vcc
	s_waitcnt lgkmcnt(0)
	s_barrier
	global_load_dwordx2 v[85:86], v[77:78], off offset:1264
	v_add_co_u32_e32 v77, vcc, s2, v81
	v_addc_co_u32_e32 v78, vcc, 0, v103, vcc
	v_add_co_u32_e32 v77, vcc, s16, v77
	v_addc_co_u32_e32 v78, vcc, 0, v78, vcc
	global_load_dwordx2 v[81:82], v[77:78], off offset:1264
	v_add_co_u32_e32 v75, vcc, s2, v75
	v_addc_co_u32_e32 v78, vcc, 0, v103, vcc
	v_add_co_u32_e32 v77, vcc, s16, v75
	v_addc_co_u32_e32 v78, vcc, 0, v78, vcc
	global_load_dwordx2 v[77:78], v[77:78], off offset:1264
	ds_read2_b32 v[97:98], v133 offset0:70 offset1:205
	v_lshlrev_b32_e32 v75, 3, v76
	v_add_co_u32_e32 v75, vcc, s2, v75
	v_addc_co_u32_e32 v76, vcc, 0, v103, vcc
	s_waitcnt lgkmcnt(0)
	v_lshrrev_b32_e32 v99, 16, v97
	v_add_co_u32_e32 v75, vcc, s16, v75
	v_addc_co_u32_e32 v76, vcc, 0, v76, vcc
	global_load_dwordx2 v[75:76], v[75:76], off offset:1264
	v_add_co_u32_e32 v96, vcc, s2, v96
	s_mov_b32 s3, 0xba79
	s_waitcnt vmcnt(3)
	v_mul_f16_sdwa v100, v97, v85 dst_sel:DWORD dst_unused:UNUSED_PAD src0_sel:DWORD src1_sel:WORD_1
	v_fma_f16 v106, v99, v85, v100
	v_mul_f16_sdwa v99, v99, v85 dst_sel:DWORD dst_unused:UNUSED_PAD src0_sel:DWORD src1_sel:WORD_1
	v_fma_f16 v196, v97, v85, -v99
	ds_read2_b32 v[99:100], v148 offset0:12 offset1:147
	v_lshrrev_b32_e32 v97, 16, v98
	s_waitcnt vmcnt(2)
	v_mul_f16_sdwa v197, v97, v81 dst_sel:DWORD dst_unused:UNUSED_PAD src0_sel:DWORD src1_sel:WORD_1
	v_fma_f16 v221, v98, v81, -v197
	v_mul_f16_sdwa v98, v98, v81 dst_sel:DWORD dst_unused:UNUSED_PAD src0_sel:DWORD src1_sel:WORD_1
	v_fma_f16 v222, v97, v81, v98
	s_waitcnt lgkmcnt(0)
	v_lshrrev_b32_e32 v97, 16, v99
	v_mul_f16_sdwa v98, v99, v86 dst_sel:DWORD dst_unused:UNUSED_PAD src0_sel:DWORD src1_sel:WORD_1
	v_fma_f16 v197, v97, v86, v98
	v_mul_f16_sdwa v97, v97, v86 dst_sel:DWORD dst_unused:UNUSED_PAD src0_sel:DWORD src1_sel:WORD_1
	v_fma_f16 v99, v99, v86, -v97
	ds_read2_b32 v[97:98], v149 offset1:135
	v_lshrrev_b32_e32 v198, 16, v100
	v_mul_f16_sdwa v199, v198, v82 dst_sel:DWORD dst_unused:UNUSED_PAD src0_sel:DWORD src1_sel:WORD_1
	v_fma_f16 v223, v100, v82, -v199
	v_mul_f16_sdwa v100, v100, v82 dst_sel:DWORD dst_unused:UNUSED_PAD src0_sel:DWORD src1_sel:WORD_1
	v_fma_f16 v100, v198, v82, v100
	v_add_f16_e32 v198, v196, v99
	s_waitcnt lgkmcnt(0)
	v_fma_f16 v198, v198, -0.5, v97
	v_sub_f16_e32 v199, v106, v197
	v_fma_f16 v200, v199, s13, v198
	v_fma_f16 v224, v199, s14, v198
	v_lshrrev_b32_e32 v198, 16, v97
	v_add_f16_e32 v199, v198, v106
	v_add_f16_e32 v106, v106, v197
	;; [unrolled: 1-line block ×3, first 2 shown]
	v_fma_f16 v106, v106, -0.5, v198
	v_add_f16_e32 v97, v97, v99
	v_sub_f16_e32 v99, v196, v99
	v_fma_f16 v196, v99, s14, v106
	v_fma_f16 v99, v99, s13, v106
	v_add_f16_e32 v199, v199, v197
	v_add_f16_e32 v106, v221, v223
	v_lshrrev_b32_e32 v225, 16, v98
	v_pack_b32_f16 v99, v224, v99
	v_fma_f16 v106, v106, -0.5, v98
	v_add_f16_e32 v98, v98, v221
	v_pack_b32_f16 v97, v97, v199
	v_pack_b32_f16 v196, v200, v196
	ds_read2_b32 v[197:198], v155 offset0:14 offset1:149
	ds_read2_b32 v[199:200], v152 offset0:84 offset1:219
	;; [unrolled: 1-line block ×12, first 2 shown]
	ds_write_b32 v149, v99 offset:10800
	v_add_f16_e32 v99, v225, v222
	v_add_f16_e32 v98, v98, v223
	;; [unrolled: 1-line block ×3, first 2 shown]
	v_pack_b32_f16 v98, v98, v99
	ds_write_b32 v149, v196 offset:5400
	ds_write2_b32 v149, v97, v98 offset1:135
	v_add_f16_e32 v97, v222, v100
	v_sub_f16_e32 v99, v222, v100
	v_fma_f16 v100, v97, -0.5, v225
	v_sub_f16_e32 v196, v221, v223
	v_fma_f16 v97, v99, s13, v106
	v_fma_f16 v98, v196, s14, v100
	v_pack_b32_f16 v221, v97, v98
	s_waitcnt lgkmcnt(13)
	v_lshrrev_b32_e32 v97, 16, v199
	s_waitcnt vmcnt(1)
	v_mul_f16_sdwa v98, v199, v77 dst_sel:DWORD dst_unused:UNUSED_PAD src0_sel:DWORD src1_sel:WORD_1
	v_fma_f16 v222, v97, v77, v98
	v_mul_f16_sdwa v97, v97, v77 dst_sel:DWORD dst_unused:UNUSED_PAD src0_sel:DWORD src1_sel:WORD_1
	v_fma_f16 v199, v199, v77, -v97
	s_waitcnt lgkmcnt(12)
	v_lshrrev_b32_e32 v97, 16, v201
	v_mul_f16_sdwa v98, v201, v78 dst_sel:DWORD dst_unused:UNUSED_PAD src0_sel:DWORD src1_sel:WORD_1
	v_fma_f16 v223, v97, v78, v98
	v_mul_f16_sdwa v97, v97, v78 dst_sel:DWORD dst_unused:UNUSED_PAD src0_sel:DWORD src1_sel:WORD_1
	v_fma_f16 v201, v201, v78, -v97
	v_add_f16_e32 v97, v199, v201
	v_fma_f16 v224, v97, -0.5, v197
	v_addc_co_u32_e32 v97, vcc, 0, v103, vcc
	v_add_co_u32_e32 v96, vcc, s16, v96
	v_addc_co_u32_e32 v97, vcc, 0, v97, vcc
	global_load_dwordx2 v[97:98], v[96:97], off offset:1264
	v_lshrrev_b32_e32 v225, 16, v197
	v_add_f16_e32 v96, v222, v223
	v_fma_f16 v96, v96, -0.5, v225
	v_sub_f16_e32 v226, v222, v223
	v_sub_f16_e32 v228, v199, v201
	v_fma_f16 v229, v228, s14, v96
	v_fma_f16 v99, v99, s14, v106
	;; [unrolled: 1-line block ×5, first 2 shown]
	v_pack_b32_f16 v99, v99, v100
	v_pack_b32_f16 v96, v106, v96
	v_add_u32_e32 v196, 0x2c00, v149
	v_add_co_u32_e32 v95, vcc, s2, v95
	ds_write2_b32 v196, v99, v96 offset0:19 offset1:154
	v_addc_co_u32_e32 v96, vcc, 0, v103, vcc
	v_add_co_u32_e32 v95, vcc, s16, v95
	v_addc_co_u32_e32 v96, vcc, 0, v96, vcc
	global_load_dwordx2 v[99:100], v[95:96], off offset:1264
	v_fma_f16 v227, v226, s13, v224
	v_pack_b32_f16 v227, v227, v229
	v_lshrrev_b32_e32 v106, 16, v200
	s_waitcnt vmcnt(2)
	v_mul_f16_sdwa v95, v200, v75 dst_sel:DWORD dst_unused:UNUSED_PAD src0_sel:DWORD src1_sel:WORD_1
	ds_write2_b32 v170, v221, v227 offset0:77 offset1:212
	v_mul_f16_sdwa v221, v106, v75 dst_sel:DWORD dst_unused:UNUSED_PAD src0_sel:DWORD src1_sel:WORD_1
	v_fma_f16 v106, v106, v75, v95
	v_lshrrev_b32_e32 v95, 16, v202
	v_mul_f16_sdwa v96, v95, v76 dst_sel:DWORD dst_unused:UNUSED_PAD src0_sel:DWORD src1_sel:WORD_1
	v_fma_f16 v221, v200, v75, -v221
	v_fma_f16 v200, v202, v76, -v96
	v_mul_f16_sdwa v96, v202, v76 dst_sel:DWORD dst_unused:UNUSED_PAD src0_sel:DWORD src1_sel:WORD_1
	v_fma_f16 v202, v95, v76, v96
	v_add_f16_e32 v95, v197, v199
	v_add_f16_e32 v96, v225, v222
	;; [unrolled: 1-line block ×5, first 2 shown]
	v_fma_f16 v199, v197, -0.5, v198
	v_lshrrev_b32_e32 v201, 16, v198
	v_add_f16_e32 v197, v198, v221
	v_pack_b32_f16 v95, v95, v96
	v_add_f16_e32 v96, v197, v200
	v_add_f16_e32 v197, v201, v106
	;; [unrolled: 1-line block ×3, first 2 shown]
	v_pack_b32_f16 v96, v96, v197
	ds_write2_b32 v155, v95, v96 offset0:14 offset1:149
	v_lshlrev_b32_e32 v95, 3, v101
	v_add_co_u32_e32 v95, vcc, s2, v95
	v_addc_co_u32_e32 v96, vcc, 0, v103, vcc
	v_add_co_u32_e32 v95, vcc, s16, v95
	v_addc_co_u32_e32 v96, vcc, 0, v96, vcc
	v_lshlrev_b32_e32 v101, 3, v102
	v_add_co_u32_e32 v101, vcc, s2, v101
	v_addc_co_u32_e32 v102, vcc, 0, v103, vcc
	v_add_co_u32_e32 v197, vcc, s16, v101
	v_add_f16_e32 v101, v106, v202
	v_addc_co_u32_e32 v198, vcc, 0, v102, vcc
	v_sub_f16_e32 v222, v106, v202
	v_fma_f16 v106, v101, -0.5, v201
	v_sub_f16_e32 v200, v221, v200
	global_load_dwordx2 v[101:102], v[95:96], off offset:1264
	v_fma_f16 v95, v222, s13, v199
	v_fma_f16 v96, v200, s14, v106
	v_pack_b32_f16 v201, v95, v96
	global_load_dwordx2 v[95:96], v[197:198], off offset:1264
	s_waitcnt lgkmcnt(13)
	v_lshrrev_b32_e32 v197, 16, v205
	v_lshrrev_b32_e32 v221, 16, v203
	s_waitcnt vmcnt(3)
	v_mul_f16_sdwa v198, v205, v97 dst_sel:DWORD dst_unused:UNUSED_PAD src0_sel:DWORD src1_sel:WORD_1
	v_fma_f16 v198, v197, v97, v198
	v_mul_f16_sdwa v197, v197, v97 dst_sel:DWORD dst_unused:UNUSED_PAD src0_sel:DWORD src1_sel:WORD_1
	v_fma_f16 v202, v205, v97, -v197
	s_waitcnt lgkmcnt(12)
	v_lshrrev_b32_e32 v197, 16, v207
	v_mul_f16_sdwa v205, v207, v98 dst_sel:DWORD dst_unused:UNUSED_PAD src0_sel:DWORD src1_sel:WORD_1
	v_fma_f16 v205, v197, v98, v205
	v_mul_f16_sdwa v197, v197, v98 dst_sel:DWORD dst_unused:UNUSED_PAD src0_sel:DWORD src1_sel:WORD_1
	v_fma_f16 v207, v207, v98, -v197
	v_add_f16_e32 v197, v202, v207
	v_add_f16_e32 v223, v198, v205
	v_fma_f16 v197, v197, -0.5, v203
	v_fma_f16 v223, v223, -0.5, v221
	v_sub_f16_e32 v224, v198, v205
	v_sub_f16_e32 v226, v202, v207
	v_fma_f16 v225, v224, s13, v197
	v_fma_f16 v199, v222, s14, v199
	;; [unrolled: 1-line block ×5, first 2 shown]
	v_pack_b32_f16 v106, v199, v106
	v_pack_b32_f16 v199, v197, v200
	v_add_u32_e32 v197, 0x3000, v149
	v_fma_f16 v227, v226, s14, v223
	ds_write2_b32 v197, v106, v199 offset0:33 offset1:168
	v_lshrrev_b32_e32 v106, 16, v206
	s_waitcnt vmcnt(2)
	v_mul_f16_sdwa v200, v206, v99 dst_sel:DWORD dst_unused:UNUSED_PAD src0_sel:DWORD src1_sel:WORD_1
	v_pack_b32_f16 v225, v225, v227
	v_mul_f16_sdwa v199, v106, v99 dst_sel:DWORD dst_unused:UNUSED_PAD src0_sel:DWORD src1_sel:WORD_1
	v_fma_f16 v200, v106, v99, v200
	v_lshrrev_b32_e32 v106, 16, v208
	ds_write2_b32 v156, v201, v225 offset0:91 offset1:226
	v_mul_f16_sdwa v201, v106, v100 dst_sel:DWORD dst_unused:UNUSED_PAD src0_sel:DWORD src1_sel:WORD_1
	v_fma_f16 v199, v206, v99, -v199
	v_fma_f16 v201, v208, v100, -v201
	v_mul_f16_sdwa v206, v208, v100 dst_sel:DWORD dst_unused:UNUSED_PAD src0_sel:DWORD src1_sel:WORD_1
	v_fma_f16 v206, v106, v100, v206
	v_add_f16_e32 v106, v203, v202
	v_add_f16_e32 v198, v221, v198
	;; [unrolled: 1-line block ×5, first 2 shown]
	v_fma_f16 v202, v202, -0.5, v204
	v_lshrrev_b32_e32 v203, 16, v204
	v_add_f16_e32 v204, v204, v199
	v_pack_b32_f16 v106, v106, v198
	v_add_f16_e32 v198, v204, v201
	v_add_f16_e32 v204, v203, v200
	;; [unrolled: 1-line block ×3, first 2 shown]
	v_pack_b32_f16 v198, v198, v204
	ds_write2_b32 v135, v106, v198 offset0:28 offset1:163
	v_sub_f16_e32 v106, v200, v206
	v_add_co_u32_e32 v105, vcc, s2, v105
	v_fma_f16 v198, v106, s13, v202
	v_fma_f16 v202, v106, s14, v202
	v_addc_co_u32_e32 v106, vcc, 0, v103, vcc
	v_add_co_u32_e32 v105, vcc, s16, v105
	v_addc_co_u32_e32 v106, vcc, 0, v106, vcc
	global_load_dwordx2 v[105:106], v[105:106], off offset:1264
	v_add_f16_e32 v200, v200, v206
	v_fma_f16 v200, v200, -0.5, v203
	v_sub_f16_e32 v199, v199, v201
	v_fma_f16 v201, v199, s14, v200
	v_add_co_u32_e32 v104, vcc, s2, v104
	v_fma_f16 v199, v199, s13, v200
	v_pack_b32_f16 v200, v198, v201
	v_addc_co_u32_e32 v201, vcc, 0, v103, vcc
	v_add_co_u32_e32 v103, vcc, s16, v104
	v_addc_co_u32_e32 v104, vcc, 0, v201, vcc
	global_load_dwordx2 v[103:104], v[103:104], off offset:1264
	v_pack_b32_f16 v198, v202, v199
	ds_write_b32 v149, v198 offset:13500
	s_waitcnt lgkmcnt(14)
	v_lshrrev_b32_e32 v198, 16, v211
	s_waitcnt vmcnt(3)
	v_mul_f16_sdwa v199, v211, v101 dst_sel:DWORD dst_unused:UNUSED_PAD src0_sel:DWORD src1_sel:WORD_1
	v_fma_f16 v199, v198, v101, v199
	v_mul_f16_sdwa v198, v198, v101 dst_sel:DWORD dst_unused:UNUSED_PAD src0_sel:DWORD src1_sel:WORD_1
	v_fma_f16 v201, v211, v101, -v198
	s_waitcnt lgkmcnt(13)
	v_lshrrev_b32_e32 v198, 16, v213
	v_mul_f16_sdwa v202, v213, v102 dst_sel:DWORD dst_unused:UNUSED_PAD src0_sel:DWORD src1_sel:WORD_1
	v_fma_f16 v202, v198, v102, v202
	v_mul_f16_sdwa v198, v198, v102 dst_sel:DWORD dst_unused:UNUSED_PAD src0_sel:DWORD src1_sel:WORD_1
	v_fma_f16 v203, v213, v102, -v198
	v_add_f16_e32 v198, v201, v203
	v_fma_f16 v204, v198, -0.5, v209
	v_lshrrev_b32_e32 v205, 16, v209
	v_add_f16_e32 v198, v199, v202
	v_fma_f16 v206, v198, -0.5, v205
	v_sub_f16_e32 v207, v199, v202
	v_sub_f16_e32 v208, v201, v203
	v_fma_f16 v198, v207, s13, v204
	v_fma_f16 v211, v208, s14, v206
	v_pack_b32_f16 v211, v198, v211
	v_add_u32_e32 v198, 0x1e00, v149
	ds_write2_b32 v198, v200, v211 offset0:105 offset1:240
	v_lshrrev_b32_e32 v200, 16, v212
	s_waitcnt vmcnt(2)
	v_mul_f16_sdwa v211, v200, v95 dst_sel:DWORD dst_unused:UNUSED_PAD src0_sel:DWORD src1_sel:WORD_1
	v_fma_f16 v211, v212, v95, -v211
	v_mul_f16_sdwa v212, v212, v95 dst_sel:DWORD dst_unused:UNUSED_PAD src0_sel:DWORD src1_sel:WORD_1
	v_fma_f16 v200, v200, v95, v212
	v_lshrrev_b32_e32 v212, 16, v214
	v_mul_f16_sdwa v213, v212, v96 dst_sel:DWORD dst_unused:UNUSED_PAD src0_sel:DWORD src1_sel:WORD_1
	v_add_f16_e32 v201, v209, v201
	v_add_f16_e32 v199, v205, v199
	v_fma_f16 v213, v214, v96, -v213
	v_mul_f16_sdwa v214, v214, v96 dst_sel:DWORD dst_unused:UNUSED_PAD src0_sel:DWORD src1_sel:WORD_1
	v_add_f16_e32 v201, v201, v203
	v_add_f16_e32 v199, v199, v202
	v_lshrrev_b32_e32 v203, 16, v210
	v_add_f16_e32 v205, v210, v211
	v_fma_f16 v212, v212, v96, v214
	v_pack_b32_f16 v199, v201, v199
	v_add_f16_e32 v201, v205, v213
	v_add_f16_e32 v205, v203, v200
	v_add_f16_e32 v205, v205, v212
	v_pack_b32_f16 v201, v201, v205
	v_add_f16_e32 v202, v211, v213
	ds_write2_b32 v154, v199, v201 offset0:42 offset1:177
	v_fma_f16 v199, v207, s14, v204
	v_sub_f16_e32 v204, v200, v212
	v_add_f16_e32 v200, v200, v212
	v_fma_f16 v202, v202, -0.5, v210
	v_fma_f16 v201, v208, s13, v206
	v_fma_f16 v200, v200, -0.5, v203
	v_sub_f16_e32 v203, v211, v213
	v_pack_b32_f16 v199, v199, v201
	v_fma_f16 v201, v204, s14, v202
	v_fma_f16 v205, v203, s13, v200
	v_pack_b32_f16 v201, v201, v205
	ds_write2_b32 v143, v199, v201 offset0:54 offset1:189
	v_fma_f16 v199, v204, s13, v202
	v_fma_f16 v200, v203, s14, v200
	v_pack_b32_f16 v200, v199, v200
	s_waitcnt lgkmcnt(14)
	v_lshrrev_b32_e32 v199, 16, v217
	v_lshrrev_b32_e32 v206, 16, v215
	s_waitcnt vmcnt(1)
	v_mul_f16_sdwa v201, v217, v105 dst_sel:DWORD dst_unused:UNUSED_PAD src0_sel:DWORD src1_sel:WORD_1
	v_fma_f16 v201, v199, v105, v201
	v_mul_f16_sdwa v199, v199, v105 dst_sel:DWORD dst_unused:UNUSED_PAD src0_sel:DWORD src1_sel:WORD_1
	v_fma_f16 v202, v217, v105, -v199
	s_waitcnt lgkmcnt(13)
	v_lshrrev_b32_e32 v199, 16, v219
	v_mul_f16_sdwa v203, v219, v106 dst_sel:DWORD dst_unused:UNUSED_PAD src0_sel:DWORD src1_sel:WORD_1
	v_fma_f16 v203, v199, v106, v203
	v_mul_f16_sdwa v199, v199, v106 dst_sel:DWORD dst_unused:UNUSED_PAD src0_sel:DWORD src1_sel:WORD_1
	v_fma_f16 v204, v219, v106, -v199
	v_add_f16_e32 v199, v202, v204
	v_fma_f16 v205, v199, -0.5, v215
	v_add_f16_e32 v199, v201, v203
	v_fma_f16 v207, v199, -0.5, v206
	v_sub_f16_e32 v208, v201, v203
	v_sub_f16_e32 v209, v202, v204
	v_fma_f16 v199, v208, s13, v205
	v_fma_f16 v210, v209, s14, v207
	v_pack_b32_f16 v210, v199, v210
	v_add_u32_e32 v199, 0x2200, v149
	ds_write2_b32 v199, v200, v210 offset0:119 offset1:254
	v_lshrrev_b32_e32 v200, 16, v218
	s_waitcnt vmcnt(0)
	v_mul_f16_sdwa v211, v218, v103 dst_sel:DWORD dst_unused:UNUSED_PAD src0_sel:DWORD src1_sel:WORD_1
	v_mul_f16_sdwa v210, v200, v103 dst_sel:DWORD dst_unused:UNUSED_PAD src0_sel:DWORD src1_sel:WORD_1
	v_fma_f16 v200, v200, v103, v211
	v_lshrrev_b32_e32 v211, 16, v220
	v_fma_f16 v210, v218, v103, -v210
	v_mul_f16_sdwa v212, v211, v104 dst_sel:DWORD dst_unused:UNUSED_PAD src0_sel:DWORD src1_sel:WORD_1
	v_add_f16_e32 v202, v215, v202
	v_add_f16_e32 v201, v206, v201
	v_fma_f16 v212, v220, v104, -v212
	v_mul_f16_sdwa v213, v220, v104 dst_sel:DWORD dst_unused:UNUSED_PAD src0_sel:DWORD src1_sel:WORD_1
	v_add_f16_e32 v202, v202, v204
	v_add_f16_e32 v201, v201, v203
	v_lshrrev_b32_e32 v204, 16, v216
	v_add_f16_e32 v206, v216, v210
	v_fma_f16 v211, v211, v104, v213
	v_pack_b32_f16 v201, v202, v201
	v_add_f16_e32 v202, v206, v212
	v_add_f16_e32 v206, v204, v200
	;; [unrolled: 1-line block ×3, first 2 shown]
	v_pack_b32_f16 v202, v202, v206
	v_add_f16_e32 v203, v210, v212
	ds_write2_b32 v153, v201, v202 offset0:56 offset1:191
	v_fma_f16 v201, v208, s14, v205
	v_sub_f16_e32 v205, v200, v211
	v_add_f16_e32 v200, v200, v211
	v_fma_f16 v203, v203, -0.5, v216
	v_fma_f16 v202, v209, s13, v207
	v_fma_f16 v200, v200, -0.5, v204
	v_sub_f16_e32 v204, v210, v212
	v_pack_b32_f16 v201, v201, v202
	v_fma_f16 v202, v205, s14, v203
	v_fma_f16 v206, v204, s13, v200
	v_pack_b32_f16 v202, v202, v206
	ds_write2_b32 v124, v201, v202 offset0:68 offset1:203
	v_fma_f16 v201, v205, s13, v203
	v_fma_f16 v200, v204, s14, v200
	v_pack_b32_f16 v200, v201, v200
	ds_write_b32 v149, v200 offset:10260
	s_waitcnt lgkmcnt(0)
	s_barrier
	global_load_dword v34, v[33:34], off offset:3912
	s_movk_i32 s2, 0x3f48
	v_add_co_u32_e32 v200, vcc, s2, v107
	v_addc_co_u32_e32 v201, vcc, 0, v108, vcc
	global_load_dword v33, v[200:201], off offset:2700
	global_load_dword v214, v[200:201], off offset:3240
	;; [unrolled: 1-line block ×4, first 2 shown]
	s_movk_i32 s2, 0x5000
	v_add_co_u32_e32 v202, vcc, s2, v107
	v_addc_co_u32_e32 v203, vcc, 0, v108, vcc
	global_load_dword v212, v[202:203], off offset:580
	global_load_dword v213, v[202:203], off offset:1120
	s_movk_i32 s2, 0x7000
	v_add_co_u32_e32 v204, vcc, s2, v107
	v_addc_co_u32_e32 v205, vcc, 0, v108, vcc
	global_load_dword v215, v[204:205], off offset:2108
	global_load_dword v216, v[204:205], off offset:2648
	ds_read2_b32 v[206:207], v149 offset1:135
	global_load_dword v217, v[200:201], off offset:540
	global_load_dword v218, v[200:201], off offset:1080
	s_movk_i32 s2, 0x6000
	v_add_co_u32_e32 v107, vcc, s2, v107
	s_waitcnt lgkmcnt(0)
	v_lshrrev_b32_e32 v208, 16, v206
	v_addc_co_u32_e32 v108, vcc, 0, v108, vcc
	s_mov_b32 s2, 0xb4f2
	s_waitcnt vmcnt(10)
	v_mul_f16_sdwa v209, v206, v34 dst_sel:DWORD dst_unused:UNUSED_PAD src0_sel:DWORD src1_sel:WORD_1
	v_fma_f16 v209, v208, v34, v209
	v_mul_f16_sdwa v208, v208, v34 dst_sel:DWORD dst_unused:UNUSED_PAD src0_sel:DWORD src1_sel:WORD_1
	v_fma_f16 v34, v206, v34, -v208
	v_pack_b32_f16 v34, v34, v209
	ds_write_b32 v149, v34
	ds_read2_b32 v[208:209], v155 offset0:14 offset1:149
	global_load_dword v34, v[200:201], off offset:3780
	ds_read2_b32 v[200:201], v135 offset0:28 offset1:163
	s_waitcnt lgkmcnt(1)
	v_lshrrev_b32_e32 v206, 16, v209
	s_waitcnt vmcnt(8)
	v_mul_f16_sdwa v219, v209, v210 dst_sel:DWORD dst_unused:UNUSED_PAD src0_sel:DWORD src1_sel:WORD_1
	v_fma_f16 v219, v206, v210, v219
	v_mul_f16_sdwa v206, v206, v210 dst_sel:DWORD dst_unused:UNUSED_PAD src0_sel:DWORD src1_sel:WORD_1
	v_fma_f16 v206, v209, v210, -v206
	s_waitcnt lgkmcnt(0)
	v_lshrrev_b32_e32 v209, 16, v200
	s_waitcnt vmcnt(7)
	v_mul_f16_sdwa v210, v200, v211 dst_sel:DWORD dst_unused:UNUSED_PAD src0_sel:DWORD src1_sel:WORD_1
	v_pack_b32_f16 v206, v206, v219
	v_fma_f16 v219, v209, v211, v210
	v_mul_f16_sdwa v220, v209, v211 dst_sel:DWORD dst_unused:UNUSED_PAD src0_sel:DWORD src1_sel:WORD_1
	ds_read2_b32 v[209:210], v153 offset0:56 offset1:191
	v_fma_f16 v200, v200, v211, -v220
	v_pack_b32_f16 v200, v200, v219
	v_add_u32_e32 v211, 0x600, v149
	ds_write2_b32 v211, v206, v200 offset0:21 offset1:156
	global_load_dword v206, v[202:203], off offset:1660
	global_load_dword v219, v[202:203], off offset:3280
	global_load_dword v220, v[202:203], off offset:3820
	global_load_dword v221, v[202:203], off offset:2740
	global_load_dword v222, v[202:203], off offset:2200
	global_load_dword v223, v[202:203], off offset:40
	s_waitcnt lgkmcnt(1)
	v_lshrrev_b32_e32 v200, 16, v210
	s_waitcnt vmcnt(12)
	v_mul_f16_sdwa v202, v210, v212 dst_sel:DWORD dst_unused:UNUSED_PAD src0_sel:DWORD src1_sel:WORD_1
	v_fma_f16 v202, v200, v212, v202
	v_mul_f16_sdwa v200, v200, v212 dst_sel:DWORD dst_unused:UNUSED_PAD src0_sel:DWORD src1_sel:WORD_1
	v_fma_f16 v200, v210, v212, -v200
	v_pack_b32_f16 v200, v200, v202
	ds_read2_b32 v[202:203], v133 offset0:70 offset1:205
	global_load_dword v224, v[107:108], off offset:1884
	global_load_dword v225, v[107:108], off offset:2424
	s_waitcnt lgkmcnt(0)
	v_lshrrev_b32_e32 v210, 16, v202
	s_waitcnt vmcnt(13)
	v_mul_f16_sdwa v211, v202, v213 dst_sel:DWORD dst_unused:UNUSED_PAD src0_sel:DWORD src1_sel:WORD_1
	v_fma_f16 v212, v210, v213, v211
	v_mul_f16_sdwa v210, v210, v213 dst_sel:DWORD dst_unused:UNUSED_PAD src0_sel:DWORD src1_sel:WORD_1
	v_fma_f16 v202, v202, v213, -v210
	ds_read2_b32 v[210:211], v143 offset0:54 offset1:189
	v_pack_b32_f16 v202, v202, v212
	v_add_u32_e32 v212, 0x1200, v149
	ds_write2_b32 v212, v200, v202 offset0:63 offset1:198
	global_load_dword v202, v[204:205], off offset:3188
	global_load_dword v226, v[204:205], off offset:1568
	s_waitcnt lgkmcnt(1)
	v_lshrrev_b32_e32 v200, 16, v211
	s_waitcnt vmcnt(14)
	v_mul_f16_sdwa v212, v211, v215 dst_sel:DWORD dst_unused:UNUSED_PAD src0_sel:DWORD src1_sel:WORD_1
	v_fma_f16 v227, v200, v215, v212
	v_mul_f16_sdwa v200, v200, v215 dst_sel:DWORD dst_unused:UNUSED_PAD src0_sel:DWORD src1_sel:WORD_1
	v_fma_f16 v200, v211, v215, -v200
	global_load_dword v211, v[204:205], off offset:1028
	ds_read2_b32 v[212:213], v124 offset0:68 offset1:203
	global_load_dword v228, v[107:108], off offset:4044
	global_load_dword v229, v[107:108], off offset:3504
	;; [unrolled: 1-line block ×4, first 2 shown]
	v_pack_b32_f16 v200, v200, v227
	s_waitcnt lgkmcnt(0)
	v_lshrrev_b32_e32 v215, 16, v212
	s_waitcnt vmcnt(18)
	v_mul_f16_sdwa v227, v212, v216 dst_sel:DWORD dst_unused:UNUSED_PAD src0_sel:DWORD src1_sel:WORD_1
	v_fma_f16 v227, v215, v216, v227
	v_mul_f16_sdwa v215, v215, v216 dst_sel:DWORD dst_unused:UNUSED_PAD src0_sel:DWORD src1_sel:WORD_1
	v_fma_f16 v212, v212, v216, -v215
	v_pack_b32_f16 v212, v212, v227
	v_add_u32_e32 v215, 0x3800, v149
	ds_write2_b32 v215, v200, v212 offset0:61 offset1:196
	v_lshrrev_b32_e32 v200, 16, v207
	s_waitcnt vmcnt(17)
	v_mul_f16_sdwa v212, v200, v217 dst_sel:DWORD dst_unused:UNUSED_PAD src0_sel:DWORD src1_sel:WORD_1
	v_fma_f16 v212, v207, v217, -v212
	v_mul_f16_sdwa v207, v207, v217 dst_sel:DWORD dst_unused:UNUSED_PAD src0_sel:DWORD src1_sel:WORD_1
	v_fma_f16 v200, v200, v217, v207
	v_lshrrev_b32_e32 v207, 16, v208
	global_load_dword v215, v[204:205], off offset:488
	s_waitcnt vmcnt(17)
	v_mul_f16_sdwa v204, v207, v218 dst_sel:DWORD dst_unused:UNUSED_PAD src0_sel:DWORD src1_sel:WORD_1
	v_mul_f16_sdwa v205, v208, v218 dst_sel:DWORD dst_unused:UNUSED_PAD src0_sel:DWORD src1_sel:WORD_1
	v_fma_f16 v204, v208, v218, -v204
	v_fma_f16 v205, v207, v218, v205
	v_pack_b32_f16 v200, v212, v200
	v_pack_b32_f16 v204, v204, v205
	v_add_u32_e32 v205, 0x200, v149
	ds_write2_b32 v205, v200, v204 offset0:7 offset1:142
	ds_read2_b32 v[204:205], v154 offset0:42 offset1:177
	v_lshrrev_b32_e32 v200, 16, v201
	v_mul_f16_sdwa v207, v200, v33 dst_sel:DWORD dst_unused:UNUSED_PAD src0_sel:DWORD src1_sel:WORD_1
	v_fma_f16 v207, v201, v33, -v207
	v_mul_f16_sdwa v201, v201, v33 dst_sel:DWORD dst_unused:UNUSED_PAD src0_sel:DWORD src1_sel:WORD_1
	v_fma_f16 v33, v200, v33, v201
	s_waitcnt lgkmcnt(0)
	v_lshrrev_b32_e32 v200, 16, v204
	v_mul_f16_sdwa v201, v204, v214 dst_sel:DWORD dst_unused:UNUSED_PAD src0_sel:DWORD src1_sel:WORD_1
	v_fma_f16 v201, v200, v214, v201
	v_mul_f16_sdwa v200, v200, v214 dst_sel:DWORD dst_unused:UNUSED_PAD src0_sel:DWORD src1_sel:WORD_1
	v_fma_f16 v200, v204, v214, -v200
	v_pack_b32_f16 v200, v200, v201
	global_load_dword v201, v[107:108], off offset:804
	global_load_dword v204, v[107:108], off offset:264
	v_pack_b32_f16 v33, v207, v33
	v_add_u32_e32 v107, 0xa00, v149
	ds_write2_b32 v107, v33, v200 offset0:35 offset1:170
	v_lshrrev_b32_e32 v33, 16, v205
	s_waitcnt vmcnt(18)
	v_mul_f16_sdwa v108, v205, v34 dst_sel:DWORD dst_unused:UNUSED_PAD src0_sel:DWORD src1_sel:WORD_1
	v_lshrrev_b32_e32 v200, 16, v209
	v_mul_f16_sdwa v107, v33, v34 dst_sel:DWORD dst_unused:UNUSED_PAD src0_sel:DWORD src1_sel:WORD_1
	v_fma_f16 v108, v33, v34, v108
	v_fma_f16 v107, v205, v34, -v107
	v_pack_b32_f16 v107, v107, v108
	s_waitcnt vmcnt(12)
	v_mul_f16_sdwa v33, v200, v223 dst_sel:DWORD dst_unused:UNUSED_PAD src0_sel:DWORD src1_sel:WORD_1
	v_fma_f16 v205, v209, v223, -v33
	v_mul_f16_sdwa v207, v209, v223 dst_sel:DWORD dst_unused:UNUSED_PAD src0_sel:DWORD src1_sel:WORD_1
	ds_read2_b32 v[33:34], v150 offset0:62 offset1:197
	v_fma_f16 v200, v200, v223, v207
	v_pack_b32_f16 v108, v205, v200
	ds_write2_b32 v161, v107, v108 offset0:49 offset1:184
	ds_read2_b32 v[107:108], v148 offset0:12 offset1:147
	s_waitcnt lgkmcnt(2)
	v_lshrrev_b32_e32 v161, 16, v34
	s_waitcnt vmcnt(11)
	v_mul_f16_sdwa v200, v34, v224 dst_sel:DWORD dst_unused:UNUSED_PAD src0_sel:DWORD src1_sel:WORD_1
	v_fma_f16 v200, v161, v224, v200
	v_mul_f16_sdwa v161, v161, v224 dst_sel:DWORD dst_unused:UNUSED_PAD src0_sel:DWORD src1_sel:WORD_1
	v_fma_f16 v34, v34, v224, -v161
	v_pack_b32_f16 v34, v34, v200
	s_waitcnt lgkmcnt(0)
	v_lshrrev_b32_e32 v161, 16, v107
	s_waitcnt vmcnt(10)
	v_mul_f16_sdwa v200, v107, v225 dst_sel:DWORD dst_unused:UNUSED_PAD src0_sel:DWORD src1_sel:WORD_1
	v_fma_f16 v200, v161, v225, v200
	v_mul_f16_sdwa v161, v161, v225 dst_sel:DWORD dst_unused:UNUSED_PAD src0_sel:DWORD src1_sel:WORD_1
	v_fma_f16 v107, v107, v225, -v161
	v_pack_b32_f16 v107, v107, v200
	ds_write2_b32 v162, v34, v107 offset0:5 offset1:140
	ds_read2_b32 v[161:162], v146 offset0:40 offset1:175
	v_lshrrev_b32_e32 v34, 16, v210
	s_waitcnt vmcnt(8)
	v_mul_f16_sdwa v200, v210, v226 dst_sel:DWORD dst_unused:UNUSED_PAD src0_sel:DWORD src1_sel:WORD_1
	v_mul_f16_sdwa v107, v34, v226 dst_sel:DWORD dst_unused:UNUSED_PAD src0_sel:DWORD src1_sel:WORD_1
	v_fma_f16 v34, v34, v226, v200
	s_waitcnt lgkmcnt(0)
	v_lshrrev_b32_e32 v200, 16, v162
	s_waitcnt vmcnt(7)
	v_mul_f16_sdwa v205, v162, v211 dst_sel:DWORD dst_unused:UNUSED_PAD src0_sel:DWORD src1_sel:WORD_1
	v_fma_f16 v205, v200, v211, v205
	v_mul_f16_sdwa v200, v200, v211 dst_sel:DWORD dst_unused:UNUSED_PAD src0_sel:DWORD src1_sel:WORD_1
	v_fma_f16 v107, v210, v226, -v107
	v_fma_f16 v162, v162, v211, -v200
	v_pack_b32_f16 v162, v162, v205
	v_pack_b32_f16 v34, v107, v34
	ds_write2_b32 v163, v162, v34 offset0:47 offset1:182
	v_lshrrev_b32_e32 v34, 16, v33
	s_waitcnt vmcnt(3)
	v_mul_f16_sdwa v107, v34, v231 dst_sel:DWORD dst_unused:UNUSED_PAD src0_sel:DWORD src1_sel:WORD_1
	v_fma_f16 v163, v33, v231, -v107
	v_mul_f16_sdwa v33, v33, v231 dst_sel:DWORD dst_unused:UNUSED_PAD src0_sel:DWORD src1_sel:WORD_1
	v_fma_f16 v200, v34, v231, v33
	v_lshrrev_b32_e32 v33, 16, v108
	v_mul_f16_sdwa v34, v33, v230 dst_sel:DWORD dst_unused:UNUSED_PAD src0_sel:DWORD src1_sel:WORD_1
	v_fma_f16 v205, v108, v230, -v34
	v_mul_f16_sdwa v34, v108, v230 dst_sel:DWORD dst_unused:UNUSED_PAD src0_sel:DWORD src1_sel:WORD_1
	v_fma_f16 v207, v33, v230, v34
	ds_read2_b32 v[33:34], v152 offset0:84 offset1:219
	v_lshrrev_b32_e32 v107, 16, v161
	s_waitcnt vmcnt(2)
	v_mul_f16_sdwa v108, v107, v215 dst_sel:DWORD dst_unused:UNUSED_PAD src0_sel:DWORD src1_sel:WORD_1
	v_fma_f16 v208, v161, v215, -v108
	v_mul_f16_sdwa v108, v161, v215 dst_sel:DWORD dst_unused:UNUSED_PAD src0_sel:DWORD src1_sel:WORD_1
	v_fma_f16 v209, v107, v215, v108
	s_waitcnt lgkmcnt(0)
	v_lshrrev_b32_e32 v107, 16, v33
	v_mul_f16_sdwa v108, v33, v222 dst_sel:DWORD dst_unused:UNUSED_PAD src0_sel:DWORD src1_sel:WORD_1
	v_fma_f16 v210, v107, v222, v108
	v_mul_f16_sdwa v107, v107, v222 dst_sel:DWORD dst_unused:UNUSED_PAD src0_sel:DWORD src1_sel:WORD_1
	v_fma_f16 v211, v33, v222, -v107
	v_lshrrev_b32_e32 v33, 16, v34
	ds_read2_b32 v[107:108], v151 offset0:98 offset1:233
	v_mul_f16_sdwa v161, v33, v221 dst_sel:DWORD dst_unused:UNUSED_PAD src0_sel:DWORD src1_sel:WORD_1
	v_fma_f16 v212, v34, v221, -v161
	v_mul_f16_sdwa v34, v34, v221 dst_sel:DWORD dst_unused:UNUSED_PAD src0_sel:DWORD src1_sel:WORD_1
	v_fma_f16 v214, v33, v221, v34
	ds_read2_b32 v[33:34], v132 offset0:112 offset1:247
	s_waitcnt lgkmcnt(1)
	v_lshrrev_b32_e32 v161, 16, v108
	v_mul_f16_sdwa v162, v108, v220 dst_sel:DWORD dst_unused:UNUSED_PAD src0_sel:DWORD src1_sel:WORD_1
	v_fma_f16 v162, v161, v220, v162
	v_mul_f16_sdwa v161, v161, v220 dst_sel:DWORD dst_unused:UNUSED_PAD src0_sel:DWORD src1_sel:WORD_1
	v_fma_f16 v108, v108, v220, -v161
	v_pack_b32_f16 v108, v108, v162
	s_waitcnt lgkmcnt(0)
	v_lshrrev_b32_e32 v161, 16, v33
	s_waitcnt vmcnt(0)
	v_mul_f16_sdwa v162, v33, v204 dst_sel:DWORD dst_unused:UNUSED_PAD src0_sel:DWORD src1_sel:WORD_1
	v_fma_f16 v215, v161, v204, v162
	v_mul_f16_sdwa v216, v161, v204 dst_sel:DWORD dst_unused:UNUSED_PAD src0_sel:DWORD src1_sel:WORD_1
	ds_read2_b32 v[161:162], v129 offset0:26 offset1:161
	v_fma_f16 v33, v33, v204, -v216
	v_pack_b32_f16 v33, v33, v215
	ds_write2_b32 v198, v108, v33 offset0:105 offset1:240
	v_pack_b32_f16 v33, v205, v207
	s_waitcnt lgkmcnt(1)
	v_lshrrev_b32_e32 v108, 16, v161
	v_mul_f16_sdwa v204, v161, v229 dst_sel:DWORD dst_unused:UNUSED_PAD src0_sel:DWORD src1_sel:WORD_1
	v_fma_f16 v204, v108, v229, v204
	v_mul_f16_sdwa v108, v108, v229 dst_sel:DWORD dst_unused:UNUSED_PAD src0_sel:DWORD src1_sel:WORD_1
	v_fma_f16 v108, v161, v229, -v108
	v_pack_b32_f16 v108, v108, v204
	ds_write2_b32 v196, v33, v108 offset0:19 offset1:154
	v_lshrrev_b32_e32 v33, 16, v203
	v_mul_f16_sdwa v108, v33, v206 dst_sel:DWORD dst_unused:UNUSED_PAD src0_sel:DWORD src1_sel:WORD_1
	v_mul_f16_sdwa v161, v203, v206 dst_sel:DWORD dst_unused:UNUSED_PAD src0_sel:DWORD src1_sel:WORD_1
	v_fma_f16 v108, v203, v206, -v108
	v_fma_f16 v33, v33, v206, v161
	v_pack_b32_f16 v161, v211, v210
	v_pack_b32_f16 v33, v108, v33
	ds_write2_b32 v170, v33, v161 offset0:77 offset1:212
	v_lshrrev_b32_e32 v33, 16, v107
	v_mul_f16_sdwa v108, v33, v219 dst_sel:DWORD dst_unused:UNUSED_PAD src0_sel:DWORD src1_sel:WORD_1
	v_fma_f16 v108, v107, v219, -v108
	v_mul_f16_sdwa v107, v107, v219 dst_sel:DWORD dst_unused:UNUSED_PAD src0_sel:DWORD src1_sel:WORD_1
	v_fma_f16 v33, v33, v219, v107
	v_pack_b32_f16 v107, v212, v214
	v_pack_b32_f16 v33, v108, v33
	ds_write2_b32 v156, v107, v33 offset0:91 offset1:226
	v_lshrrev_b32_e32 v33, 16, v34
	v_mul_f16_sdwa v107, v33, v201 dst_sel:DWORD dst_unused:UNUSED_PAD src0_sel:DWORD src1_sel:WORD_1
	v_fma_f16 v107, v34, v201, -v107
	v_mul_f16_sdwa v34, v34, v201 dst_sel:DWORD dst_unused:UNUSED_PAD src0_sel:DWORD src1_sel:WORD_1
	v_fma_f16 v33, v33, v201, v34
	v_pack_b32_f16 v34, v163, v200
	v_pack_b32_f16 v33, v107, v33
	ds_write2_b32 v199, v33, v34 offset0:119 offset1:254
	v_lshrrev_b32_e32 v33, 16, v162
	v_mul_f16_sdwa v34, v33, v228 dst_sel:DWORD dst_unused:UNUSED_PAD src0_sel:DWORD src1_sel:WORD_1
	v_mul_f16_sdwa v107, v162, v228 dst_sel:DWORD dst_unused:UNUSED_PAD src0_sel:DWORD src1_sel:WORD_1
	v_fma_f16 v34, v162, v228, -v34
	v_fma_f16 v33, v33, v228, v107
	v_pack_b32_f16 v107, v208, v209
	v_pack_b32_f16 v33, v34, v33
	ds_write2_b32 v197, v33, v107 offset0:33 offset1:168
	v_lshrrev_b32_e32 v33, 16, v213
	v_mul_f16_sdwa v34, v33, v202 dst_sel:DWORD dst_unused:UNUSED_PAD src0_sel:DWORD src1_sel:WORD_1
	v_mul_f16_sdwa v107, v213, v202 dst_sel:DWORD dst_unused:UNUSED_PAD src0_sel:DWORD src1_sel:WORD_1
	v_fma_f16 v34, v213, v202, -v34
	v_fma_f16 v33, v33, v202, v107
	v_pack_b32_f16 v33, v34, v33
	ds_write_b32 v149, v33 offset:15660
	s_waitcnt lgkmcnt(0)
	s_barrier
	ds_read2_b32 v[33:34], v150 offset0:62 offset1:197
	ds_read2_b32 v[107:108], v146 offset0:40 offset1:175
	;; [unrolled: 1-line block ×4, first 2 shown]
	ds_read2_b32 v[202:203], v149 offset1:135
	s_waitcnt lgkmcnt(3)
	v_sub_f16_e32 v163, v33, v107
	s_waitcnt lgkmcnt(2)
	v_sub_f16_sdwa v228, v161, v107 dst_sel:DWORD dst_unused:UNUSED_PAD src0_sel:WORD_1 src1_sel:WORD_1
	s_waitcnt lgkmcnt(1)
	v_sub_f16_e32 v204, v200, v161
	v_add_f16_e32 v163, v204, v163
	v_add_f16_e32 v204, v161, v107
	s_waitcnt lgkmcnt(0)
	v_fma_f16 v204, v204, -0.5, v202
	v_sub_f16_sdwa v229, v200, v33 dst_sel:DWORD dst_unused:UNUSED_PAD src0_sel:WORD_1 src1_sel:WORD_1
	v_fma_f16 v205, v229, s0, v204
	v_fma_f16 v204, v229, s7, v204
	;; [unrolled: 1-line block ×6, first 2 shown]
	v_sub_f16_sdwa v204, v200, v161 dst_sel:DWORD dst_unused:UNUSED_PAD src0_sel:WORD_1 src1_sel:WORD_1
	v_sub_f16_sdwa v205, v33, v107 dst_sel:DWORD dst_unused:UNUSED_PAD src0_sel:WORD_1 src1_sel:WORD_1
	v_add_f16_e32 v212, v204, v205
	v_lshrrev_b32_e32 v216, 16, v202
	v_add_f16_sdwa v204, v161, v107 dst_sel:DWORD dst_unused:UNUSED_PAD src0_sel:WORD_1 src1_sel:WORD_1
	v_fma_f16 v204, v204, -0.5, v216
	v_sub_f16_e32 v232, v200, v33
	v_sub_f16_e32 v231, v161, v107
	v_fma_f16 v205, v232, s7, v204
	v_fma_f16 v205, v231, s1, v205
	;; [unrolled: 1-line block ×4, first 2 shown]
	ds_read2_b32 v[204:205], v148 offset0:12 offset1:147
	ds_read2_b32 v[206:207], v143 offset0:54 offset1:189
	;; [unrolled: 1-line block ×4, first 2 shown]
	v_fma_f16 v213, v231, s12, v213
	v_fma_f16 v234, v212, s6, v213
	ds_read2_b32 v[212:213], v155 offset0:14 offset1:149
	s_waitcnt lgkmcnt(3)
	v_sub_f16_e32 v214, v205, v207
	s_waitcnt lgkmcnt(1)
	v_sub_f16_e32 v215, v211, v209
	v_add_f16_e32 v214, v215, v214
	v_add_f16_e32 v215, v209, v207
	s_waitcnt lgkmcnt(0)
	v_fma_f16 v215, v215, -0.5, v213
	v_sub_f16_sdwa v236, v211, v205 dst_sel:DWORD dst_unused:UNUSED_PAD src0_sel:WORD_1 src1_sel:WORD_1
	v_sub_f16_sdwa v235, v209, v207 dst_sel:DWORD dst_unused:UNUSED_PAD src0_sel:WORD_1 src1_sel:WORD_1
	v_fma_f16 v217, v236, s0, v215
	v_fma_f16 v215, v236, s7, v215
	;; [unrolled: 1-line block ×6, first 2 shown]
	v_sub_f16_sdwa v215, v211, v209 dst_sel:DWORD dst_unused:UNUSED_PAD src0_sel:WORD_1 src1_sel:WORD_1
	v_sub_f16_sdwa v218, v205, v207 dst_sel:DWORD dst_unused:UNUSED_PAD src0_sel:WORD_1 src1_sel:WORD_1
	v_add_f16_e32 v215, v215, v218
	v_lshrrev_b32_e32 v218, 16, v213
	v_add_f16_sdwa v219, v209, v207 dst_sel:DWORD dst_unused:UNUSED_PAD src0_sel:WORD_1 src1_sel:WORD_1
	v_fma_f16 v219, v219, -0.5, v218
	v_sub_f16_e32 v238, v211, v205
	v_sub_f16_e32 v237, v209, v207
	v_fma_f16 v220, v238, s7, v219
	v_fma_f16 v220, v237, s1, v220
	;; [unrolled: 1-line block ×6, first 2 shown]
	v_mul_f16_e32 v219, 0xbb9c, v220
	v_fma_f16 v239, v217, s6, v219
	v_mul_f16_e32 v219, 0x34f2, v220
	v_fma_f16 v240, v217, s0, v219
	v_mul_f16_e32 v217, 0xbb9c, v215
	v_mul_f16_e32 v215, 0xb4f2, v215
	v_fma_f16 v241, v214, s2, v217
	v_fma_f16 v242, v214, s0, v215
	v_add_f16_e32 v214, v163, v241
	v_add_f16_e32 v215, v234, v242
	v_pack_b32_f16 v215, v214, v215
	v_add_f16_e32 v214, v230, v239
	v_add_f16_e32 v217, v233, v240
	v_pack_b32_f16 v214, v214, v217
	v_sub_f16_e32 v217, v107, v33
	v_sub_f16_e32 v219, v161, v200
	v_add_f16_e32 v243, v219, v217
	v_add_f16_sdwa v217, v200, v33 dst_sel:DWORD dst_unused:UNUSED_PAD src0_sel:WORD_1 src1_sel:WORD_1
	v_fma_f16 v244, v217, -0.5, v216
	v_sub_f16_sdwa v216, v161, v200 dst_sel:DWORD dst_unused:UNUSED_PAD src0_sel:WORD_1 src1_sel:WORD_1
	v_sub_f16_sdwa v217, v107, v33 dst_sel:DWORD dst_unused:UNUSED_PAD src0_sel:WORD_1 src1_sel:WORD_1
	v_add_f16_e32 v245, v216, v217
	v_sub_f16_e32 v216, v207, v205
	v_sub_f16_e32 v217, v209, v211
	v_add_f16_e32 v246, v217, v216
	v_add_f16_sdwa v216, v211, v205 dst_sel:DWORD dst_unused:UNUSED_PAD src0_sel:WORD_1 src1_sel:WORD_1
	v_fma_f16 v247, v216, -0.5, v218
	v_sub_f16_sdwa v216, v209, v211 dst_sel:DWORD dst_unused:UNUSED_PAD src0_sel:WORD_1 src1_sel:WORD_1
	v_sub_f16_sdwa v217, v207, v205 dst_sel:DWORD dst_unused:UNUSED_PAD src0_sel:WORD_1 src1_sel:WORD_1
	v_add_f16_e32 v248, v216, v217
	v_add_f16_e32 v216, v211, v205
	v_fma_f16 v249, v216, -0.5, v213
	v_fma_f16 v217, v237, s0, v247
	v_fma_f16 v216, v235, s7, v249
	;; [unrolled: 1-line block ×6, first 2 shown]
	v_mul_f16_e32 v218, 0xb8b4, v217
	v_fma_f16 v250, v216, s15, v218
	v_mul_f16_e32 v216, 0x38b4, v216
	v_pk_add_f16 v161, v202, v161
	v_fma_f16 v251, v217, s15, v216
	v_add_f16_e32 v216, v200, v33
	v_pk_add_f16 v161, v161, v200
	v_fma_f16 v252, v216, -0.5, v202
	v_pk_add_f16 v33, v161, v33
	v_fma_f16 v216, v228, s7, v252
	v_pk_add_f16 v33, v33, v107
	v_fma_f16 v107, v231, s0, v244
	;; [unrolled: 2-line block ×3, first 2 shown]
	v_fma_f16 v107, v232, s1, v107
	v_pk_add_f16 v161, v161, v211
	v_fma_f16 v253, v243, s6, v216
	v_fma_f16 v107, v245, s6, v107
	v_pk_add_f16 v161, v161, v205
	v_pk_add_f16 v161, v161, v207
	v_add_f16_e32 v200, v253, v250
	v_add_f16_e32 v202, v107, v251
	v_pack_b32_f16 v217, v200, v202
	v_pk_add_f16 v216, v33, v161
	v_sub_f16_e32 v202, v230, v239
	v_sub_f16_e32 v205, v233, v240
	ds_read2_b32 v[218:219], v135 offset0:28 offset1:163
	ds_read2_b32 v[220:221], v133 offset0:70 offset1:205
	;; [unrolled: 1-line block ×5, first 2 shown]
	s_waitcnt lgkmcnt(0)
	s_barrier
	ds_write2_b64 v157, v[216:217], v[214:215] offset1:1
	v_pack_b32_f16 v214, v202, v205
	v_fma_f16 v205, v237, s7, v247
	v_sub_f16_e32 v200, v253, v250
	v_sub_f16_e32 v107, v107, v251
	v_fma_f16 v202, v235, s0, v249
	v_fma_f16 v205, v238, s12, v205
	v_pack_b32_f16 v213, v200, v107
	v_fma_f16 v107, v228, s0, v252
	v_fma_f16 v200, v231, s7, v244
	;; [unrolled: 1-line block ×7, first 2 shown]
	v_mul_f16_e32 v207, 0xb8b4, v205
	v_mul_f16_e32 v205, 0xba79, v205
	v_fma_f16 v107, v243, s6, v107
	v_fma_f16 v200, v245, s6, v200
	;; [unrolled: 1-line block ×4, first 2 shown]
	v_pk_add_f16 v216, v33, v161 neg_lo:[0,1] neg_hi:[0,1]
	v_add_f16_e32 v33, v107, v207
	v_add_f16_e32 v161, v200, v202
	v_pack_b32_f16 v215, v33, v161
	v_sub_f16_e32 v33, v163, v241
	v_sub_f16_e32 v161, v234, v242
	ds_write2_b64 v157, v[215:216], v[213:214] offset0:2 offset1:3
	v_pack_b32_f16 v213, v33, v161
	v_pk_add_f16 v33, v203, v162
	v_sub_f16_e32 v107, v107, v207
	v_sub_f16_e32 v163, v200, v202
	v_pk_add_f16 v33, v33, v201
	v_pack_b32_f16 v214, v107, v163
	v_add_f16_e32 v209, v162, v108
	v_pk_add_f16 v33, v33, v34
	ds_write_b64 v157, v[213:214] offset:32
	v_add_f16_e32 v107, v201, v34
	v_sub_f16_sdwa v157, v201, v34 dst_sel:DWORD dst_unused:UNUSED_PAD src0_sel:WORD_1 src1_sel:WORD_1
	v_sub_f16_e32 v161, v162, v201
	v_sub_f16_e32 v163, v201, v162
	v_add_f16_sdwa v200, v201, v34 dst_sel:DWORD dst_unused:UNUSED_PAD src0_sel:WORD_1 src1_sel:WORD_1
	v_sub_f16_e32 v202, v201, v34
	v_sub_f16_sdwa v205, v162, v201 dst_sel:DWORD dst_unused:UNUSED_PAD src0_sel:WORD_1 src1_sel:WORD_1
	v_sub_f16_sdwa v201, v201, v162 dst_sel:DWORD dst_unused:UNUSED_PAD src0_sel:WORD_1 src1_sel:WORD_1
	;; [unrolled: 1-line block ×3, first 2 shown]
	v_sub_f16_e32 v211, v162, v108
	v_add_f16_sdwa v162, v162, v108 dst_sel:DWORD dst_unused:UNUSED_PAD src0_sel:WORD_1 src1_sel:WORD_1
	v_sub_f16_e32 v213, v108, v34
	v_sub_f16_e32 v214, v34, v108
	v_sub_f16_sdwa v215, v108, v34 dst_sel:DWORD dst_unused:UNUSED_PAD src0_sel:WORD_1 src1_sel:WORD_1
	v_sub_f16_sdwa v34, v34, v108 dst_sel:DWORD dst_unused:UNUSED_PAD src0_sel:WORD_1 src1_sel:WORD_1
	v_pk_add_f16 v216, v33, v108
	v_fma_f16 v108, v209, -0.5, v203
	v_add_f16_e32 v33, v163, v214
	v_fma_f16 v163, v157, s0, v108
	v_fma_f16 v108, v157, s7, v108
	;; [unrolled: 1-line block ×4, first 2 shown]
	v_fma_f16 v214, v107, -0.5, v203
	v_lshrrev_b32_e32 v107, 16, v203
	v_fma_f16 v163, v33, s6, v163
	v_fma_f16 v209, v33, s6, v108
	v_add_f16_e32 v33, v201, v34
	v_fma_f16 v34, v162, -0.5, v107
	v_fma_f16 v108, v202, s7, v34
	v_fma_f16 v34, v202, s0, v34
	;; [unrolled: 1-line block ×6, first 2 shown]
	v_sub_f16_e32 v33, v224, v226
	v_sub_f16_e32 v34, v222, v220
	v_add_f16_e32 v33, v34, v33
	v_add_f16_e32 v34, v220, v226
	v_fma_f16 v34, v34, -0.5, v218
	v_sub_f16_sdwa v217, v222, v224 dst_sel:DWORD dst_unused:UNUSED_PAD src0_sel:WORD_1 src1_sel:WORD_1
	v_sub_f16_sdwa v203, v220, v226 dst_sel:DWORD dst_unused:UNUSED_PAD src0_sel:WORD_1 src1_sel:WORD_1
	v_fma_f16 v108, v217, s0, v34
	v_fma_f16 v34, v217, s7, v34
	;; [unrolled: 1-line block ×6, first 2 shown]
	v_sub_f16_sdwa v34, v222, v220 dst_sel:DWORD dst_unused:UNUSED_PAD src0_sel:WORD_1 src1_sel:WORD_1
	v_sub_f16_sdwa v228, v224, v226 dst_sel:DWORD dst_unused:UNUSED_PAD src0_sel:WORD_1 src1_sel:WORD_1
	v_add_f16_e32 v34, v34, v228
	v_lshrrev_b32_e32 v228, 16, v218
	v_add_f16_sdwa v229, v220, v226 dst_sel:DWORD dst_unused:UNUSED_PAD src0_sel:WORD_1 src1_sel:WORD_1
	v_fma_f16 v229, v229, -0.5, v228
	v_sub_f16_e32 v231, v222, v224
	v_sub_f16_e32 v230, v220, v226
	v_fma_f16 v232, v231, s7, v229
	v_fma_f16 v232, v230, s1, v232
	;; [unrolled: 1-line block ×6, first 2 shown]
	v_mul_f16_e32 v229, 0xbb9c, v232
	v_mul_f16_e32 v232, 0x34f2, v232
	v_fma_f16 v229, v108, s6, v229
	v_fma_f16 v232, v108, s0, v232
	v_mul_f16_e32 v108, 0xbb9c, v34
	v_mul_f16_e32 v34, 0xb4f2, v34
	v_fma_f16 v233, v33, s2, v108
	v_fma_f16 v234, v33, s0, v34
	v_add_f16_e32 v33, v209, v233
	v_add_f16_e32 v34, v201, v234
	v_pack_b32_f16 v34, v33, v34
	v_add_f16_e32 v33, v163, v229
	v_add_f16_e32 v108, v162, v232
	v_pack_b32_f16 v33, v33, v108
	v_fma_f16 v200, v200, -0.5, v107
	v_sub_f16_e32 v107, v226, v224
	v_sub_f16_e32 v108, v220, v222
	v_add_f16_e32 v161, v161, v213
	v_add_f16_e32 v213, v108, v107
	v_add_f16_sdwa v107, v222, v224 dst_sel:DWORD dst_unused:UNUSED_PAD src0_sel:WORD_1 src1_sel:WORD_1
	v_add_f16_e32 v205, v205, v215
	v_fma_f16 v215, v107, -0.5, v228
	v_sub_f16_sdwa v107, v220, v222 dst_sel:DWORD dst_unused:UNUSED_PAD src0_sel:WORD_1 src1_sel:WORD_1
	v_sub_f16_sdwa v108, v226, v224 dst_sel:DWORD dst_unused:UNUSED_PAD src0_sel:WORD_1 src1_sel:WORD_1
	v_add_f16_e32 v228, v107, v108
	v_add_f16_e32 v107, v222, v224
	v_fma_f16 v235, v107, -0.5, v218
	v_fma_f16 v108, v230, s0, v215
	v_fma_f16 v107, v203, s7, v235
	;; [unrolled: 1-line block ×6, first 2 shown]
	v_mul_f16_e32 v236, 0xb8b4, v108
	v_fma_f16 v236, v107, s15, v236
	v_mul_f16_e32 v107, 0x38b4, v107
	v_fma_f16 v237, v108, s15, v107
	v_fma_f16 v107, v207, s7, v214
	;; [unrolled: 1-line block ×7, first 2 shown]
	v_pk_add_f16 v107, v218, v220
	v_pk_add_f16 v107, v107, v222
	;; [unrolled: 1-line block ×4, first 2 shown]
	v_add_f16_e32 v107, v238, v236
	v_add_f16_e32 v108, v239, v237
	v_pack_b32_f16 v108, v107, v108
	v_pk_add_f16 v107, v216, v218
	ds_write2_b64 v158, v[107:108], v[33:34] offset1:1
	v_sub_f16_e32 v33, v238, v236
	v_sub_f16_e32 v107, v239, v237
	v_pack_b32_f16 v33, v33, v107
	v_fma_f16 v107, v207, s0, v214
	v_fma_f16 v107, v157, s1, v107
	v_sub_f16_e32 v34, v163, v229
	v_sub_f16_e32 v108, v162, v232
	v_fma_f16 v157, v161, s6, v107
	v_fma_f16 v107, v211, s7, v200
	v_pack_b32_f16 v34, v34, v108
	v_fma_f16 v107, v202, s12, v107
	v_fma_f16 v108, v230, s7, v215
	;; [unrolled: 1-line block ×8, first 2 shown]
	v_mul_f16_e32 v162, 0xb8b4, v108
	v_mul_f16_e32 v108, 0xba79, v108
	v_fma_f16 v162, v107, s3, v162
	v_fma_f16 v163, v107, s1, v108
	v_add_f16_e32 v107, v157, v162
	v_add_f16_e32 v200, v161, v163
	v_pk_add_f16 v108, v216, v218 neg_lo:[0,1] neg_hi:[0,1]
	v_pack_b32_f16 v107, v107, v200
	ds_write2_b64 v158, v[107:108], v[33:34] offset0:2 offset1:3
	v_sub_f16_e32 v33, v209, v233
	v_sub_f16_e32 v34, v157, v162
	;; [unrolled: 1-line block ×4, first 2 shown]
	v_pack_b32_f16 v34, v34, v108
	v_pack_b32_f16 v33, v33, v107
	ds_write_b64 v158, v[33:34] offset:32
	v_pk_add_f16 v33, v212, v208
	v_pk_add_f16 v33, v33, v210
	v_pk_add_f16 v33, v33, v204
	v_add_f16_e32 v34, v210, v204
	v_sub_f16_sdwa v157, v210, v204 dst_sel:DWORD dst_unused:UNUSED_PAD src0_sel:WORD_1 src1_sel:WORD_1
	v_sub_f16_e32 v107, v208, v210
	v_sub_f16_e32 v108, v210, v208
	v_add_f16_sdwa v158, v210, v204 dst_sel:DWORD dst_unused:UNUSED_PAD src0_sel:WORD_1 src1_sel:WORD_1
	v_sub_f16_e32 v161, v210, v204
	v_sub_f16_sdwa v162, v208, v210 dst_sel:DWORD dst_unused:UNUSED_PAD src0_sel:WORD_1 src1_sel:WORD_1
	v_sub_f16_sdwa v163, v210, v208 dst_sel:DWORD dst_unused:UNUSED_PAD src0_sel:WORD_1 src1_sel:WORD_1
	;; [unrolled: 1-line block ×3, first 2 shown]
	v_add_f16_e32 v201, v208, v206
	v_sub_f16_e32 v202, v208, v206
	v_add_f16_sdwa v203, v208, v206 dst_sel:DWORD dst_unused:UNUSED_PAD src0_sel:WORD_1 src1_sel:WORD_1
	v_sub_f16_e32 v205, v206, v204
	v_sub_f16_e32 v207, v204, v206
	v_sub_f16_sdwa v208, v206, v204 dst_sel:DWORD dst_unused:UNUSED_PAD src0_sel:WORD_1 src1_sel:WORD_1
	v_sub_f16_sdwa v204, v204, v206 dst_sel:DWORD dst_unused:UNUSED_PAD src0_sel:WORD_1 src1_sel:WORD_1
	v_pk_add_f16 v206, v33, v206
	v_pk_add_f16 v33, v219, v221
	;; [unrolled: 1-line block ×4, first 2 shown]
	v_add_f16_e32 v209, v223, v225
	v_sub_f16_sdwa v210, v223, v225 dst_sel:DWORD dst_unused:UNUSED_PAD src0_sel:WORD_1 src1_sel:WORD_1
	v_sub_f16_e32 v211, v221, v223
	v_sub_f16_e32 v213, v223, v221
	v_add_f16_sdwa v214, v223, v225 dst_sel:DWORD dst_unused:UNUSED_PAD src0_sel:WORD_1 src1_sel:WORD_1
	v_sub_f16_e32 v215, v223, v225
	v_sub_f16_sdwa v216, v221, v223 dst_sel:DWORD dst_unused:UNUSED_PAD src0_sel:WORD_1 src1_sel:WORD_1
	v_sub_f16_sdwa v217, v223, v221 dst_sel:DWORD dst_unused:UNUSED_PAD src0_sel:WORD_1 src1_sel:WORD_1
	;; [unrolled: 1-line block ×3, first 2 shown]
	v_add_f16_e32 v220, v221, v227
	v_sub_f16_e32 v222, v221, v227
	v_add_f16_sdwa v221, v221, v227 dst_sel:DWORD dst_unused:UNUSED_PAD src0_sel:WORD_1 src1_sel:WORD_1
	v_sub_f16_e32 v223, v227, v225
	v_sub_f16_e32 v224, v225, v227
	v_sub_f16_sdwa v226, v227, v225 dst_sel:DWORD dst_unused:UNUSED_PAD src0_sel:WORD_1 src1_sel:WORD_1
	v_sub_f16_sdwa v225, v225, v227 dst_sel:DWORD dst_unused:UNUSED_PAD src0_sel:WORD_1 src1_sel:WORD_1
	v_pk_add_f16 v227, v33, v227
	v_add_f16_e32 v33, v108, v207
	v_fma_f16 v108, v201, -0.5, v212
	v_fma_f16 v201, v157, s0, v108
	v_fma_f16 v108, v157, s7, v108
	;; [unrolled: 1-line block ×4, first 2 shown]
	v_lshrrev_b32_e32 v108, 16, v212
	v_fma_f16 v201, v200, s12, v201
	v_fma_f16 v228, v34, -0.5, v212
	v_fma_f16 v34, v203, -0.5, v108
	v_fma_f16 v201, v33, s6, v201
	v_add_f16_e32 v33, v163, v204
	v_fma_f16 v163, v161, s7, v34
	v_fma_f16 v34, v161, s0, v34
	;; [unrolled: 1-line block ×4, first 2 shown]
	v_fma_f16 v34, v220, -0.5, v219
	v_fma_f16 v163, v202, s1, v163
	v_fma_f16 v204, v210, s0, v34
	;; [unrolled: 1-line block ×3, first 2 shown]
	v_lshrrev_b32_e32 v212, 16, v219
	v_fma_f16 v163, v33, s6, v163
	v_add_f16_e32 v33, v213, v224
	v_fma_f16 v204, v218, s12, v204
	v_fma_f16 v34, v218, s1, v34
	v_fma_f16 v213, v221, -0.5, v212
	v_fma_f16 v204, v33, s6, v204
	v_fma_f16 v33, v33, s6, v34
	v_add_f16_e32 v34, v217, v225
	v_fma_f16 v217, v215, s7, v213
	v_add_f16_e32 v162, v162, v208
	v_add_f16_e32 v208, v211, v223
	v_fma_f16 v211, v214, -0.5, v212
	v_fma_f16 v209, v209, -0.5, v219
	v_fma_f16 v217, v222, s1, v217
	v_fma_f16 v213, v215, s0, v213
	v_fma_f16 v158, v158, -0.5, v108
	v_fma_f16 v108, v222, s0, v211
	v_fma_f16 v217, v34, s6, v217
	;; [unrolled: 1-line block ×3, first 2 shown]
	v_add_f16_e32 v205, v107, v205
	v_add_f16_e32 v212, v216, v226
	v_fma_f16 v107, v218, s7, v209
	v_fma_f16 v108, v215, s1, v108
	;; [unrolled: 1-line block ×3, first 2 shown]
	v_mul_f16_e32 v213, 0xbb9c, v217
	v_mul_f16_e32 v217, 0x34f2, v217
	v_fma_f16 v107, v210, s12, v107
	v_fma_f16 v108, v212, s6, v108
	;; [unrolled: 1-line block ×4, first 2 shown]
	v_mul_f16_e32 v217, 0xbb9c, v34
	v_mul_f16_e32 v34, 0xb4f2, v34
	v_fma_f16 v107, v208, s6, v107
	v_mul_f16_e32 v214, 0xb8b4, v108
	v_fma_f16 v217, v33, s2, v217
	v_fma_f16 v219, v33, s0, v34
	;; [unrolled: 1-line block ×3, first 2 shown]
	v_mul_f16_e32 v107, 0x38b4, v107
	v_add_f16_e32 v33, v207, v217
	v_add_f16_e32 v34, v203, v219
	v_fma_f16 v216, v108, s15, v107
	v_fma_f16 v107, v200, s7, v228
	v_pack_b32_f16 v34, v33, v34
	v_add_f16_e32 v33, v201, v213
	v_add_f16_e32 v220, v163, v204
	v_fma_f16 v107, v157, s12, v107
	v_pack_b32_f16 v33, v33, v220
	v_fma_f16 v220, v205, s6, v107
	v_fma_f16 v107, v202, s0, v158
	;; [unrolled: 1-line block ×4, first 2 shown]
	v_add_f16_e32 v107, v220, v214
	v_add_f16_e32 v108, v221, v216
	v_pack_b32_f16 v108, v107, v108
	v_pk_add_f16 v107, v206, v227
	ds_write2_b64 v160, v[107:108], v[33:34] offset1:1
	v_sub_f16_e32 v33, v220, v214
	v_sub_f16_e32 v107, v221, v216
	v_pack_b32_f16 v33, v33, v107
	v_fma_f16 v107, v200, s0, v228
	v_fma_f16 v107, v157, s1, v107
	v_sub_f16_e32 v34, v201, v213
	v_sub_f16_e32 v108, v163, v204
	v_fma_f16 v157, v205, s6, v107
	v_fma_f16 v107, v202, s7, v158
	v_pack_b32_f16 v34, v34, v108
	v_fma_f16 v107, v161, s12, v107
	v_fma_f16 v108, v222, s7, v211
	v_fma_f16 v158, v162, s6, v107
	v_fma_f16 v107, v218, s0, v209
	v_fma_f16 v108, v215, s12, v108
	v_fma_f16 v107, v210, s1, v107
	v_fma_f16 v108, v212, s6, v108
	v_fma_f16 v107, v208, s6, v107
	v_mul_f16_e32 v161, 0xb8b4, v108
	v_mul_f16_e32 v108, 0xba79, v108
	v_fma_f16 v161, v107, s3, v161
	v_fma_f16 v162, v107, s1, v108
	v_add_f16_e32 v107, v157, v161
	v_add_f16_e32 v163, v158, v162
	v_pk_add_f16 v108, v206, v227 neg_lo:[0,1] neg_hi:[0,1]
	v_pack_b32_f16 v107, v107, v163
	ds_write2_b64 v160, v[107:108], v[33:34] offset0:2 offset1:3
	v_sub_f16_e32 v33, v207, v217
	v_sub_f16_e32 v34, v157, v161
	;; [unrolled: 1-line block ×4, first 2 shown]
	v_pack_b32_f16 v34, v34, v108
	v_pack_b32_f16 v33, v33, v107
	ds_write_b64 v160, v[33:34] offset:32
	s_waitcnt lgkmcnt(0)
	s_barrier
	ds_read2_b32 v[33:34], v154 offset0:42 offset1:177
	ds_read2_b32 v[107:108], v152 offset0:84 offset1:219
	;; [unrolled: 1-line block ×3, first 2 shown]
	s_mov_b32 s2, 0xc0898b71
	s_mov_b32 s3, 0x3f302e85
	s_waitcnt lgkmcnt(2)
	v_lshrrev_b32_e32 v157, 16, v33
	v_mul_f16_sdwa v158, v0, v33 dst_sel:DWORD dst_unused:UNUSED_PAD src0_sel:WORD_1 src1_sel:DWORD
	v_fma_f16 v209, v0, v157, -v158
	v_mul_f16_sdwa v157, v0, v157 dst_sel:DWORD dst_unused:UNUSED_PAD src0_sel:WORD_1 src1_sel:DWORD
	v_fma_f16 v212, v0, v33, v157
	s_waitcnt lgkmcnt(1)
	v_lshrrev_b32_e32 v0, 16, v107
	ds_read2_b32 v[157:158], v150 offset0:62 offset1:197
	v_mul_f16_sdwa v33, v1, v107 dst_sel:DWORD dst_unused:UNUSED_PAD src0_sel:WORD_1 src1_sel:DWORD
	v_fma_f16 v211, v1, v0, -v33
	v_mul_f16_sdwa v0, v1, v0 dst_sel:DWORD dst_unused:UNUSED_PAD src0_sel:WORD_1 src1_sel:DWORD
	v_fma_f16 v214, v1, v107, v0
	ds_read2_b32 v[0:1], v146 offset0:40 offset1:175
	s_waitcnt lgkmcnt(1)
	v_lshrrev_b32_e32 v33, 16, v157
	v_mul_f16_sdwa v107, v2, v157 dst_sel:DWORD dst_unused:UNUSED_PAD src0_sel:WORD_1 src1_sel:DWORD
	v_fma_f16 v213, v2, v33, -v107
	v_mul_f16_sdwa v33, v2, v33 dst_sel:DWORD dst_unused:UNUSED_PAD src0_sel:WORD_1 src1_sel:DWORD
	v_fma_f16 v216, v2, v157, v33
	s_waitcnt lgkmcnt(0)
	v_lshrrev_b32_e32 v2, 16, v0
	v_mul_f16_sdwa v33, v3, v0 dst_sel:DWORD dst_unused:UNUSED_PAD src0_sel:WORD_1 src1_sel:DWORD
	v_fma_f16 v215, v3, v2, -v33
	v_mul_f16_sdwa v2, v3, v2 dst_sel:DWORD dst_unused:UNUSED_PAD src0_sel:WORD_1 src1_sel:DWORD
	v_fma_f16 v217, v3, v0, v2
	v_lshrrev_b32_e32 v0, 16, v34
	v_mul_f16_sdwa v2, v4, v0 dst_sel:DWORD dst_unused:UNUSED_PAD src0_sel:WORD_1 src1_sel:DWORD
	v_fma_f16 v203, v4, v34, v2
	v_mul_f16_sdwa v2, v4, v34 dst_sel:DWORD dst_unused:UNUSED_PAD src0_sel:WORD_1 src1_sel:DWORD
	v_fma_f16 v200, v4, v0, -v2
	v_lshrrev_b32_e32 v0, 16, v108
	v_mul_f16_sdwa v2, v5, v0 dst_sel:DWORD dst_unused:UNUSED_PAD src0_sel:WORD_1 src1_sel:DWORD
	v_fma_f16 v206, v5, v108, v2
	v_mul_f16_sdwa v2, v5, v108 dst_sel:DWORD dst_unused:UNUSED_PAD src0_sel:WORD_1 src1_sel:DWORD
	v_fma_f16 v202, v5, v0, -v2
	;; [unrolled: 5-line block ×3, first 2 shown]
	v_lshrrev_b32_e32 v0, 16, v1
	ds_read2_b32 v[2:3], v153 offset0:56 offset1:191
	v_mul_f16_sdwa v4, v7, v0 dst_sel:DWORD dst_unused:UNUSED_PAD src0_sel:WORD_1 src1_sel:DWORD
	v_fma_f16 v210, v7, v1, v4
	v_mul_f16_sdwa v1, v7, v1 dst_sel:DWORD dst_unused:UNUSED_PAD src0_sel:WORD_1 src1_sel:DWORD
	v_fma_f16 v208, v7, v0, -v1
	ds_read2_b32 v[0:1], v151 offset0:98 offset1:233
	s_waitcnt lgkmcnt(1)
	v_lshrrev_b32_e32 v4, 16, v2
	v_mul_f16_sdwa v5, v20, v2 dst_sel:DWORD dst_unused:UNUSED_PAD src0_sel:WORD_1 src1_sel:DWORD
	v_fma_f16 v108, v20, v4, -v5
	v_mul_f16_sdwa v4, v20, v4 dst_sel:DWORD dst_unused:UNUSED_PAD src0_sel:WORD_1 src1_sel:DWORD
	v_fma_f16 v160, v20, v2, v4
	ds_read2_b32 v[4:5], v148 offset0:12 offset1:147
	s_waitcnt lgkmcnt(1)
	v_lshrrev_b32_e32 v2, 16, v0
	v_mul_f16_sdwa v6, v21, v0 dst_sel:DWORD dst_unused:UNUSED_PAD src0_sel:WORD_1 src1_sel:DWORD
	v_fma_f16 v158, v21, v2, -v6
	ds_read2_b32 v[6:7], v143 offset0:54 offset1:189
	v_mul_f16_sdwa v2, v21, v2 dst_sel:DWORD dst_unused:UNUSED_PAD src0_sel:WORD_1 src1_sel:DWORD
	v_fma_f16 v162, v21, v0, v2
	s_waitcnt lgkmcnt(1)
	v_lshrrev_b32_e32 v0, 16, v4
	v_mul_f16_sdwa v2, v22, v4 dst_sel:DWORD dst_unused:UNUSED_PAD src0_sel:WORD_1 src1_sel:DWORD
	v_fma_f16 v161, v22, v0, -v2
	v_mul_f16_sdwa v0, v22, v0 dst_sel:DWORD dst_unused:UNUSED_PAD src0_sel:WORD_1 src1_sel:DWORD
	v_fma_f16 v201, v22, v4, v0
	s_waitcnt lgkmcnt(0)
	v_lshrrev_b32_e32 v0, 16, v6
	v_mul_f16_sdwa v2, v23, v6 dst_sel:DWORD dst_unused:UNUSED_PAD src0_sel:WORD_1 src1_sel:DWORD
	v_fma_f16 v163, v23, v0, -v2
	v_mul_f16_sdwa v0, v23, v0 dst_sel:DWORD dst_unused:UNUSED_PAD src0_sel:WORD_1 src1_sel:DWORD
	v_fma_f16 v205, v23, v6, v0
	v_lshrrev_b32_e32 v0, 16, v3
	v_mul_f16_sdwa v2, v16, v0 dst_sel:DWORD dst_unused:UNUSED_PAD src0_sel:WORD_1 src1_sel:DWORD
	v_fma_f16 v22, v16, v3, v2
	v_mul_f16_sdwa v2, v16, v3 dst_sel:DWORD dst_unused:UNUSED_PAD src0_sel:WORD_1 src1_sel:DWORD
	v_fma_f16 v20, v16, v0, -v2
	v_lshrrev_b32_e32 v0, 16, v1
	v_mul_f16_sdwa v2, v17, v0 dst_sel:DWORD dst_unused:UNUSED_PAD src0_sel:WORD_1 src1_sel:DWORD
	v_fma_f16 v33, v17, v1, v2
	v_mul_f16_sdwa v1, v17, v1 dst_sel:DWORD dst_unused:UNUSED_PAD src0_sel:WORD_1 src1_sel:DWORD
	v_fma_f16 v21, v17, v0, -v1
	;; [unrolled: 5-line block ×3, first 2 shown]
	ds_read2_b32 v[0:1], v133 offset0:70 offset1:205
	v_lshrrev_b32_e32 v2, 16, v7
	v_mul_f16_sdwa v3, v19, v2 dst_sel:DWORD dst_unused:UNUSED_PAD src0_sel:WORD_1 src1_sel:DWORD
	v_fma_f16 v157, v19, v7, v3
	v_mul_f16_sdwa v3, v19, v7 dst_sel:DWORD dst_unused:UNUSED_PAD src0_sel:WORD_1 src1_sel:DWORD
	v_fma_f16 v107, v19, v2, -v3
	s_waitcnt lgkmcnt(0)
	v_lshrrev_b32_e32 v4, 16, v0
	ds_read2_b32 v[2:3], v132 offset0:112 offset1:247
	v_mul_f16_sdwa v5, v12, v0 dst_sel:DWORD dst_unused:UNUSED_PAD src0_sel:WORD_1 src1_sel:DWORD
	v_fma_f16 v16, v12, v4, -v5
	v_mul_f16_sdwa v4, v12, v4 dst_sel:DWORD dst_unused:UNUSED_PAD src0_sel:WORD_1 src1_sel:DWORD
	v_fma_f16 v17, v12, v0, v4
	ds_read2_b32 v[4:5], v129 offset0:26 offset1:161
	s_waitcnt lgkmcnt(1)
	v_lshrrev_b32_e32 v0, 16, v2
	v_mul_f16_sdwa v6, v13, v2 dst_sel:DWORD dst_unused:UNUSED_PAD src0_sel:WORD_1 src1_sel:DWORD
	v_fma_f16 v12, v13, v0, -v6
	v_mul_f16_sdwa v0, v13, v0 dst_sel:DWORD dst_unused:UNUSED_PAD src0_sel:WORD_1 src1_sel:DWORD
	v_fma_f16 v18, v13, v2, v0
	s_waitcnt lgkmcnt(0)
	v_lshrrev_b32_e32 v0, 16, v4
	v_mul_f16_sdwa v2, v14, v4 dst_sel:DWORD dst_unused:UNUSED_PAD src0_sel:WORD_1 src1_sel:DWORD
	v_fma_f16 v13, v14, v0, -v2
	v_mul_f16_sdwa v0, v14, v0 dst_sel:DWORD dst_unused:UNUSED_PAD src0_sel:WORD_1 src1_sel:DWORD
	v_fma_f16 v19, v14, v4, v0
	v_lshrrev_b32_e32 v0, 16, v218
	v_mul_f16_sdwa v2, v15, v218 dst_sel:DWORD dst_unused:UNUSED_PAD src0_sel:WORD_1 src1_sel:DWORD
	v_fma_f16 v14, v15, v0, -v2
	v_mul_f16_sdwa v0, v15, v0 dst_sel:DWORD dst_unused:UNUSED_PAD src0_sel:WORD_1 src1_sel:DWORD
	v_fma_f16 v15, v15, v218, v0
	v_lshrrev_b32_e32 v0, 16, v1
	v_mul_f16_sdwa v2, v8, v0 dst_sel:DWORD dst_unused:UNUSED_PAD src0_sel:WORD_1 src1_sel:DWORD
	v_fma_f16 v2, v8, v1, v2
	v_mul_f16_sdwa v1, v8, v1 dst_sel:DWORD dst_unused:UNUSED_PAD src0_sel:WORD_1 src1_sel:DWORD
	v_fma_f16 v0, v8, v0, -v1
	v_lshrrev_b32_e32 v1, 16, v3
	v_mul_f16_sdwa v4, v9, v1 dst_sel:DWORD dst_unused:UNUSED_PAD src0_sel:WORD_1 src1_sel:DWORD
	v_fma_f16 v4, v9, v3, v4
	v_mul_f16_sdwa v3, v9, v3 dst_sel:DWORD dst_unused:UNUSED_PAD src0_sel:WORD_1 src1_sel:DWORD
	v_fma_f16 v1, v9, v1, -v3
	;; [unrolled: 5-line block ×3, first 2 shown]
	v_lshrrev_b32_e32 v5, 16, v219
	v_mul_f16_sdwa v8, v11, v219 dst_sel:DWORD dst_unused:UNUSED_PAD src0_sel:WORD_1 src1_sel:DWORD
	v_mul_f16_sdwa v7, v11, v5 dst_sel:DWORD dst_unused:UNUSED_PAD src0_sel:WORD_1 src1_sel:DWORD
	v_fma_f16 v5, v11, v5, -v8
	ds_read2_b32 v[8:9], v149 offset1:135
	v_fma_f16 v7, v11, v219, v7
	v_sub_f16_e32 v10, v212, v214
	v_sub_f16_e32 v11, v217, v216
	v_add_f16_e32 v220, v10, v11
	v_sub_f16_e32 v10, v209, v211
	v_sub_f16_e32 v11, v215, v213
	s_waitcnt lgkmcnt(0)
	v_lshrrev_b32_e32 v222, 16, v8
	v_add_f16_e32 v221, v10, v11
	v_add_f16_e32 v10, v8, v212
	v_add_f16_e32 v11, v222, v209
	v_add_f16_e32 v10, v10, v214
	v_add_f16_e32 v11, v11, v211
	v_add_f16_e32 v10, v10, v216
	v_add_f16_e32 v11, v11, v213
	v_add_f16_e32 v10, v10, v217
	v_add_f16_e32 v11, v11, v215
	v_pack_b32_f16 v223, v10, v11
	v_add_f16_e32 v10, v214, v216
	v_sub_f16_e32 v228, v212, v217
	v_sub_f16_e32 v229, v214, v216
	;; [unrolled: 1-line block ×3, first 2 shown]
	v_add_f16_e32 v212, v212, v217
	v_fma_f16 v224, v10, -0.5, v8
	v_sub_f16_e32 v226, v211, v213
	v_fma_f16 v8, v212, -0.5, v8
	v_sub_f16_e32 v225, v209, v215
	v_sub_f16_e32 v216, v216, v217
	v_fma_f16 v212, v226, s0, v8
	v_fma_f16 v8, v226, s7, v8
	v_add_f16_e32 v214, v214, v216
	v_fma_f16 v212, v225, s12, v212
	v_fma_f16 v8, v225, s1, v8
	;; [unrolled: 1-line block ×4, first 2 shown]
	v_add_f16_e32 v214, v209, v215
	v_add_f16_e32 v11, v211, v213
	v_fma_f16 v214, v214, -0.5, v222
	v_sub_f16_e32 v209, v211, v209
	v_sub_f16_e32 v211, v213, v215
	v_fma_f16 v227, v11, -0.5, v222
	v_add_f16_e32 v209, v209, v211
	v_fma_f16 v211, v229, s7, v214
	v_fma_f16 v213, v229, s0, v214
	;; [unrolled: 1-line block ×12, first 2 shown]
	v_pack_b32_f16 v211, v212, v211
	v_pack_b32_f16 v8, v8, v209
	;; [unrolled: 1-line block ×3, first 2 shown]
	ds_read2_b32 v[10:11], v155 offset0:14 offset1:149
	ds_read2_b32 v[218:219], v135 offset0:28 offset1:163
	s_waitcnt lgkmcnt(0)
	s_barrier
	ds_write2_b32 v159, v211, v8 offset0:20 offset1:30
	v_fma_f16 v8, v225, s0, v224
	v_fma_f16 v209, v228, s7, v227
	;; [unrolled: 1-line block ×6, first 2 shown]
	v_pack_b32_f16 v8, v8, v209
	v_sub_f16_e32 v211, v203, v206
	v_sub_f16_e32 v212, v210, v207
	ds_write2_b32 v159, v223, v230 offset1:10
	ds_write_b32 v159, v8 offset:160
	v_add_f16_e32 v8, v206, v207
	v_add_f16_e32 v159, v203, v210
	v_lshrrev_b32_e32 v209, 16, v9
	v_add_f16_e32 v211, v211, v212
	v_sub_f16_e32 v212, v200, v202
	v_sub_f16_e32 v213, v208, v204
	v_fma_f16 v8, v8, -0.5, v9
	v_fma_f16 v159, v159, -0.5, v9
	v_add_f16_e32 v9, v9, v203
	v_add_f16_e32 v212, v212, v213
	;; [unrolled: 1-line block ×10, first 2 shown]
	v_pack_b32_f16 v9, v9, v213
	v_sub_f16_e32 v213, v200, v208
	v_fma_f16 v216, v216, -0.5, v209
	v_sub_f16_e32 v217, v203, v210
	v_fma_f16 v214, v213, s7, v8
	v_sub_f16_e32 v215, v202, v204
	v_fma_f16 v220, v217, s0, v216
	;; [unrolled: 2-line block ×3, first 2 shown]
	v_fma_f16 v220, v221, s1, v220
	v_fma_f16 v214, v211, s6, v214
	;; [unrolled: 1-line block ×3, first 2 shown]
	v_pack_b32_f16 v214, v214, v220
	ds_write2_b32 v164, v9, v214 offset1:10
	v_sub_f16_e32 v9, v206, v203
	v_sub_f16_e32 v203, v207, v210
	v_add_f16_e32 v9, v9, v203
	v_fma_f16 v203, v215, s0, v159
	v_fma_f16 v159, v215, s7, v159
	;; [unrolled: 1-line block ×6, first 2 shown]
	v_add_f16_e32 v159, v200, v208
	v_fma_f16 v159, v159, -0.5, v209
	v_sub_f16_e32 v200, v202, v200
	v_sub_f16_e32 v202, v204, v208
	v_add_f16_e32 v200, v200, v202
	v_fma_f16 v202, v221, s7, v159
	v_fma_f16 v159, v221, s0, v159
	;; [unrolled: 1-line block ×6, first 2 shown]
	v_pack_b32_f16 v200, v203, v202
	v_pack_b32_f16 v9, v9, v159
	ds_write2_b32 v164, v200, v9 offset0:20 offset1:30
	v_fma_f16 v8, v213, s0, v8
	v_fma_f16 v9, v217, s7, v216
	;; [unrolled: 1-line block ×6, first 2 shown]
	v_pack_b32_f16 v8, v8, v9
	ds_write_b32 v164, v8 offset:160
	v_sub_f16_e32 v8, v160, v162
	v_sub_f16_e32 v9, v205, v201
	v_add_f16_e32 v8, v8, v9
	v_sub_f16_e32 v9, v108, v158
	v_sub_f16_e32 v159, v163, v161
	v_lshrrev_b32_e32 v164, 16, v10
	v_add_f16_e32 v9, v9, v159
	v_add_f16_e32 v159, v10, v160
	;; [unrolled: 1-line block ×9, first 2 shown]
	v_pack_b32_f16 v159, v159, v200
	v_add_f16_e32 v200, v162, v201
	v_add_f16_e32 v206, v158, v161
	v_fma_f16 v200, v200, -0.5, v10
	v_sub_f16_e32 v202, v108, v163
	v_fma_f16 v206, v206, -0.5, v164
	v_sub_f16_e32 v207, v160, v205
	v_fma_f16 v203, v202, s7, v200
	v_sub_f16_e32 v204, v158, v161
	v_fma_f16 v208, v207, s0, v206
	;; [unrolled: 2-line block ×3, first 2 shown]
	v_fma_f16 v208, v209, s1, v208
	v_fma_f16 v203, v8, s6, v203
	;; [unrolled: 1-line block ×3, first 2 shown]
	v_pack_b32_f16 v203, v203, v208
	ds_write2_b32 v165, v159, v203 offset1:10
	v_sub_f16_e32 v159, v162, v160
	v_add_f16_e32 v160, v160, v205
	v_fma_f16 v10, v160, -0.5, v10
	v_sub_f16_e32 v162, v201, v205
	v_fma_f16 v160, v204, s0, v10
	v_fma_f16 v10, v204, s7, v10
	v_add_f16_e32 v159, v159, v162
	v_fma_f16 v160, v202, s12, v160
	v_fma_f16 v10, v202, s1, v10
	;; [unrolled: 1-line block ×4, first 2 shown]
	v_add_f16_e32 v159, v108, v163
	v_fma_f16 v159, v159, -0.5, v164
	v_sub_f16_e32 v108, v158, v108
	v_sub_f16_e32 v158, v161, v163
	v_add_f16_e32 v108, v108, v158
	v_fma_f16 v158, v209, s7, v159
	v_fma_f16 v159, v209, s0, v159
	;; [unrolled: 1-line block ×6, first 2 shown]
	v_pack_b32_f16 v158, v160, v158
	v_pack_b32_f16 v10, v10, v108
	ds_write2_b32 v165, v158, v10 offset0:20 offset1:30
	v_fma_f16 v10, v202, s0, v200
	v_fma_f16 v10, v204, s1, v10
	;; [unrolled: 1-line block ×6, first 2 shown]
	v_pack_b32_f16 v8, v8, v9
	v_sub_f16_e32 v108, v22, v33
	v_sub_f16_e32 v158, v157, v34
	ds_write_b32 v165, v8 offset:160
	v_add_f16_e32 v8, v33, v34
	v_add_f16_e32 v9, v22, v157
	v_lshrrev_b32_e32 v10, 16, v11
	v_add_f16_e32 v108, v108, v158
	v_sub_f16_e32 v158, v20, v21
	v_sub_f16_e32 v159, v107, v23
	v_fma_f16 v8, v8, -0.5, v11
	v_fma_f16 v9, v9, -0.5, v11
	v_add_f16_e32 v11, v11, v22
	v_add_f16_e32 v158, v158, v159
	;; [unrolled: 1-line block ×10, first 2 shown]
	v_pack_b32_f16 v11, v11, v159
	v_sub_f16_e32 v159, v20, v107
	v_fma_f16 v162, v162, -0.5, v10
	v_sub_f16_e32 v163, v22, v157
	v_fma_f16 v160, v159, s7, v8
	v_sub_f16_e32 v161, v21, v23
	v_fma_f16 v164, v163, s0, v162
	;; [unrolled: 2-line block ×3, first 2 shown]
	v_fma_f16 v164, v165, s1, v164
	v_fma_f16 v160, v108, s6, v160
	;; [unrolled: 1-line block ×3, first 2 shown]
	v_pack_b32_f16 v160, v160, v164
	ds_write2_b32 v166, v11, v160 offset1:10
	v_sub_f16_e32 v11, v33, v22
	v_sub_f16_e32 v22, v34, v157
	v_add_f16_e32 v11, v11, v22
	v_fma_f16 v22, v161, s0, v9
	v_fma_f16 v9, v161, s7, v9
	;; [unrolled: 1-line block ×6, first 2 shown]
	v_add_f16_e32 v11, v20, v107
	v_fma_f16 v10, v11, -0.5, v10
	v_sub_f16_e32 v11, v21, v20
	v_sub_f16_e32 v20, v23, v107
	v_add_f16_e32 v11, v11, v20
	v_fma_f16 v20, v165, s7, v10
	v_fma_f16 v10, v165, s0, v10
	;; [unrolled: 1-line block ×6, first 2 shown]
	v_pack_b32_f16 v11, v22, v20
	v_pack_b32_f16 v9, v9, v10
	ds_write2_b32 v166, v11, v9 offset0:20 offset1:30
	v_fma_f16 v8, v159, s0, v8
	v_fma_f16 v9, v163, s7, v162
	;; [unrolled: 1-line block ×6, first 2 shown]
	v_pack_b32_f16 v8, v8, v9
	ds_write_b32 v166, v8 offset:160
	v_sub_f16_e32 v8, v17, v18
	v_sub_f16_e32 v9, v15, v19
	v_add_f16_e32 v8, v8, v9
	v_sub_f16_e32 v9, v16, v12
	v_sub_f16_e32 v10, v14, v13
	v_lshrrev_b32_e32 v11, 16, v218
	v_add_f16_e32 v9, v9, v10
	v_add_f16_e32 v10, v218, v17
	v_add_f16_e32 v20, v11, v16
	v_add_f16_e32 v10, v10, v18
	v_add_f16_e32 v20, v20, v12
	v_add_f16_e32 v10, v10, v19
	v_add_f16_e32 v20, v20, v13
	v_add_f16_e32 v10, v10, v15
	v_add_f16_e32 v20, v20, v14
	v_pack_b32_f16 v10, v10, v20
	v_add_f16_e32 v20, v18, v19
	v_add_f16_e32 v33, v12, v13
	v_fma_f16 v20, v20, -0.5, v218
	v_sub_f16_e32 v21, v16, v14
	v_fma_f16 v33, v33, -0.5, v11
	v_sub_f16_e32 v34, v17, v15
	v_fma_f16 v22, v21, s7, v20
	v_sub_f16_e32 v23, v12, v13
	v_fma_f16 v107, v34, s0, v33
	;; [unrolled: 2-line block ×3, first 2 shown]
	v_fma_f16 v107, v108, s1, v107
	v_fma_f16 v22, v8, s6, v22
	;; [unrolled: 1-line block ×3, first 2 shown]
	v_pack_b32_f16 v22, v22, v107
	ds_write2_b32 v167, v10, v22 offset1:10
	v_sub_f16_e32 v10, v18, v17
	v_add_f16_e32 v17, v17, v15
	v_sub_f16_e32 v15, v19, v15
	v_add_f16_e32 v10, v10, v15
	v_fma_f16 v15, v17, -0.5, v218
	v_fma_f16 v17, v23, s0, v15
	v_fma_f16 v15, v23, s7, v15
	;; [unrolled: 1-line block ×6, first 2 shown]
	v_add_f16_e32 v15, v16, v14
	v_fma_f16 v11, v15, -0.5, v11
	v_sub_f16_e32 v12, v12, v16
	v_sub_f16_e32 v13, v13, v14
	v_add_f16_e32 v12, v12, v13
	v_fma_f16 v13, v108, s7, v11
	v_fma_f16 v11, v108, s0, v11
	;; [unrolled: 1-line block ×6, first 2 shown]
	v_pack_b32_f16 v12, v17, v13
	v_pack_b32_f16 v10, v10, v11
	ds_write2_b32 v167, v12, v10 offset0:20 offset1:30
	v_fma_f16 v10, v21, s0, v20
	v_fma_f16 v10, v23, s1, v10
	;; [unrolled: 1-line block ×5, first 2 shown]
	v_sub_f16_e32 v12, v2, v4
	v_sub_f16_e32 v13, v7, v6
	v_fma_f16 v9, v9, s6, v10
	v_lshrrev_b32_e32 v10, 16, v219
	v_add_f16_e32 v12, v12, v13
	v_sub_f16_e32 v13, v0, v1
	v_sub_f16_e32 v14, v5, v3
	v_add_f16_e32 v11, v219, v2
	v_add_f16_e32 v13, v13, v14
	;; [unrolled: 1-line block ×5, first 2 shown]
	v_pack_b32_f16 v8, v8, v9
	v_add_f16_e32 v9, v2, v7
	v_add_f16_e32 v11, v11, v6
	;; [unrolled: 1-line block ×3, first 2 shown]
	ds_write_b32 v167, v8 offset:160
	v_add_f16_e32 v8, v4, v6
	v_fma_f16 v9, v9, -0.5, v219
	v_add_f16_e32 v11, v11, v7
	v_add_f16_e32 v14, v14, v5
	v_sub_f16_e32 v16, v1, v3
	v_sub_f16_e32 v18, v2, v7
	;; [unrolled: 1-line block ×5, first 2 shown]
	v_pack_b32_f16 v11, v11, v14
	v_sub_f16_e32 v14, v0, v5
	v_add_f16_e32 v2, v2, v4
	v_fma_f16 v4, v16, s0, v9
	v_fma_f16 v6, v16, s7, v9
	;; [unrolled: 1-line block ×6, first 2 shown]
	v_add_f16_e32 v6, v0, v5
	v_add_f16_e32 v17, v1, v3
	v_fma_f16 v6, v6, -0.5, v10
	v_sub_f16_e32 v0, v1, v0
	v_sub_f16_e32 v1, v3, v5
	v_add_f16_e32 v0, v0, v1
	v_fma_f16 v1, v20, s7, v6
	v_fma_f16 v3, v20, s0, v6
	;; [unrolled: 1-line block ×6, first 2 shown]
	v_fma_f16 v8, v8, -0.5, v219
	v_fma_f16 v17, v17, -0.5, v10
	v_pack_b32_f16 v1, v4, v1
	v_pack_b32_f16 v0, v2, v0
	v_fma_f16 v15, v14, s7, v8
	v_fma_f16 v19, v18, s0, v17
	ds_write2_b32 v168, v1, v0 offset0:20 offset1:30
	v_fma_f16 v0, v14, s0, v8
	v_fma_f16 v1, v18, s7, v17
	v_fma_f16 v15, v16, s12, v15
	v_fma_f16 v19, v20, s1, v19
	v_fma_f16 v0, v16, s1, v0
	v_fma_f16 v1, v20, s12, v1
	v_fma_f16 v15, v12, s6, v15
	v_fma_f16 v19, v13, s6, v19
	v_fma_f16 v0, v12, s6, v0
	v_fma_f16 v1, v13, s6, v1
	v_pack_b32_f16 v15, v15, v19
	v_pack_b32_f16 v0, v0, v1
	ds_write2_b32 v168, v11, v15 offset1:10
	ds_write_b32 v168, v0 offset:160
	s_waitcnt lgkmcnt(0)
	s_barrier
	ds_read2_b32 v[0:1], v133 offset0:70 offset1:205
	ds_read2_b32 v[2:3], v148 offset0:12 offset1:147
	s_movk_i32 s6, 0x1ff
	s_movk_i32 s7, 0xffe
	s_waitcnt lgkmcnt(1)
	v_lshrrev_b32_e32 v4, 16, v0
	v_mul_f16_sdwa v5, v29, v0 dst_sel:DWORD dst_unused:UNUSED_PAD src0_sel:WORD_1 src1_sel:DWORD
	v_fma_f16 v5, v29, v4, -v5
	v_mul_f16_sdwa v4, v29, v4 dst_sel:DWORD dst_unused:UNUSED_PAD src0_sel:WORD_1 src1_sel:DWORD
	v_fma_f16 v4, v29, v0, v4
	s_waitcnt lgkmcnt(0)
	v_lshrrev_b32_e32 v0, 16, v2
	v_mul_f16_sdwa v6, v30, v2 dst_sel:DWORD dst_unused:UNUSED_PAD src0_sel:WORD_1 src1_sel:DWORD
	v_fma_f16 v6, v30, v0, -v6
	v_mul_f16_sdwa v0, v30, v0 dst_sel:DWORD dst_unused:UNUSED_PAD src0_sel:WORD_1 src1_sel:DWORD
	v_fma_f16 v7, v30, v2, v0
	v_lshrrev_b32_e32 v0, 16, v1
	v_mul_f16_sdwa v2, v31, v0 dst_sel:DWORD dst_unused:UNUSED_PAD src0_sel:WORD_1 src1_sel:DWORD
	v_fma_f16 v10, v31, v1, v2
	v_mul_f16_sdwa v1, v31, v1 dst_sel:DWORD dst_unused:UNUSED_PAD src0_sel:WORD_1 src1_sel:DWORD
	v_lshrrev_b32_e32 v2, 16, v3
	v_fma_f16 v11, v31, v0, -v1
	ds_read2_b32 v[0:1], v152 offset0:84 offset1:219
	v_mul_f16_sdwa v8, v32, v2 dst_sel:DWORD dst_unused:UNUSED_PAD src0_sel:WORD_1 src1_sel:DWORD
	v_fma_f16 v12, v32, v3, v8
	v_mul_f16_sdwa v3, v32, v3 dst_sel:DWORD dst_unused:UNUSED_PAD src0_sel:WORD_1 src1_sel:DWORD
	v_fma_f16 v13, v32, v2, -v3
	ds_read2_b32 v[2:3], v129 offset0:26 offset1:161
	s_waitcnt lgkmcnt(1)
	v_lshrrev_b32_e32 v8, 16, v0
	v_mul_f16_sdwa v9, v27, v0 dst_sel:DWORD dst_unused:UNUSED_PAD src0_sel:WORD_1 src1_sel:DWORD
	v_fma_f16 v14, v27, v8, -v9
	v_mul_f16_sdwa v8, v27, v8 dst_sel:DWORD dst_unused:UNUSED_PAD src0_sel:WORD_1 src1_sel:DWORD
	v_fma_f16 v15, v27, v0, v8
	s_waitcnt lgkmcnt(0)
	v_lshrrev_b32_e32 v0, 16, v2
	v_mul_f16_sdwa v8, v28, v2 dst_sel:DWORD dst_unused:UNUSED_PAD src0_sel:WORD_1 src1_sel:DWORD
	v_fma_f16 v16, v28, v0, -v8
	v_mul_f16_sdwa v0, v28, v0 dst_sel:DWORD dst_unused:UNUSED_PAD src0_sel:WORD_1 src1_sel:DWORD
	v_fma_f16 v17, v28, v2, v0
	v_lshrrev_b32_e32 v0, 16, v1
	v_mul_f16_sdwa v2, v25, v0 dst_sel:DWORD dst_unused:UNUSED_PAD src0_sel:WORD_1 src1_sel:DWORD
	v_fma_f16 v18, v25, v1, v2
	v_mul_f16_sdwa v1, v25, v1 dst_sel:DWORD dst_unused:UNUSED_PAD src0_sel:WORD_1 src1_sel:DWORD
	v_lshrrev_b32_e32 v2, 16, v3
	v_fma_f16 v19, v25, v0, -v1
	ds_read2_b32 v[0:1], v151 offset0:98 offset1:233
	v_mul_f16_sdwa v8, v26, v2 dst_sel:DWORD dst_unused:UNUSED_PAD src0_sel:WORD_1 src1_sel:DWORD
	v_fma_f16 v20, v26, v3, v8
	v_mul_f16_sdwa v3, v26, v3 dst_sel:DWORD dst_unused:UNUSED_PAD src0_sel:WORD_1 src1_sel:DWORD
	v_fma_f16 v21, v26, v2, -v3
	ds_read2_b32 v[2:3], v146 offset0:40 offset1:175
	;; [unrolled: 24-line block ×4, first 2 shown]
	s_waitcnt lgkmcnt(1)
	v_lshrrev_b32_e32 v8, 16, v0
	v_mul_f16_sdwa v9, v43, v0 dst_sel:DWORD dst_unused:UNUSED_PAD src0_sel:WORD_1 src1_sel:DWORD
	v_fma_f16 v49, v43, v8, -v9
	v_mul_f16_sdwa v8, v43, v8 dst_sel:DWORD dst_unused:UNUSED_PAD src0_sel:WORD_1 src1_sel:DWORD
	v_fma_f16 v43, v43, v0, v8
	s_waitcnt lgkmcnt(0)
	v_lshrrev_b32_e32 v0, 16, v2
	v_mul_f16_sdwa v8, v44, v2 dst_sel:DWORD dst_unused:UNUSED_PAD src0_sel:WORD_1 src1_sel:DWORD
	v_fma_f16 v50, v44, v0, -v8
	v_mul_f16_sdwa v0, v44, v0 dst_sel:DWORD dst_unused:UNUSED_PAD src0_sel:WORD_1 src1_sel:DWORD
	v_fma_f16 v44, v44, v2, v0
	v_lshrrev_b32_e32 v0, 16, v1
	v_mul_f16_sdwa v2, v39, v0 dst_sel:DWORD dst_unused:UNUSED_PAD src0_sel:WORD_1 src1_sel:DWORD
	v_fma_f16 v53, v39, v1, v2
	v_mul_f16_sdwa v1, v39, v1 dst_sel:DWORD dst_unused:UNUSED_PAD src0_sel:WORD_1 src1_sel:DWORD
	v_fma_f16 v39, v39, v0, -v1
	ds_read2_b32 v[0:1], v149 offset1:135
	v_lshrrev_b32_e32 v2, 16, v3
	v_mul_f16_sdwa v8, v40, v2 dst_sel:DWORD dst_unused:UNUSED_PAD src0_sel:WORD_1 src1_sel:DWORD
	v_fma_f16 v54, v40, v3, v8
	v_mul_f16_sdwa v3, v40, v3 dst_sel:DWORD dst_unused:UNUSED_PAD src0_sel:WORD_1 src1_sel:DWORD
	v_fma_f16 v40, v40, v2, -v3
	s_waitcnt lgkmcnt(0)
	v_lshrrev_b32_e32 v2, 16, v0
	v_add_f16_e32 v3, v2, v5
	v_sub_f16_e32 v107, v5, v6
	v_add_f16_e32 v5, v5, v6
	v_fma_f16 v108, v5, -0.5, v2
	v_add_f16_e32 v2, v0, v4
	v_add_f16_e32 v5, v4, v7
	;; [unrolled: 1-line block ×4, first 2 shown]
	v_sub_f16_e32 v157, v4, v7
	v_fma_f16 v0, v5, -0.5, v0
	v_pack_b32_f16 v158, v2, v3
	v_fma_f16 v2, v107, s14, v0
	v_fma_f16 v0, v107, s13, v0
	;; [unrolled: 1-line block ×4, first 2 shown]
	v_pack_b32_f16 v0, v0, v107
	v_lshrrev_b32_e32 v107, 16, v1
	v_pack_b32_f16 v159, v2, v3
	ds_read2_b32 v[2:3], v155 offset0:14 offset1:149
	ds_read2_b32 v[4:5], v135 offset0:28 offset1:163
	;; [unrolled: 1-line block ×4, first 2 shown]
	s_waitcnt lgkmcnt(0)
	s_barrier
	ds_write_b32 v169, v0 offset:400
	v_add_f16_e32 v0, v10, v12
	v_add_f16_e32 v108, v107, v11
	v_sub_f16_e32 v157, v11, v13
	v_add_f16_e32 v11, v11, v13
	v_fma_f16 v0, v0, -0.5, v1
	v_add_f16_e32 v1, v1, v10
	v_fma_f16 v11, v11, -0.5, v107
	v_sub_f16_e32 v10, v10, v12
	v_add_f16_e32 v108, v108, v13
	v_add_f16_e32 v1, v1, v12
	v_fma_f16 v12, v157, s14, v0
	v_fma_f16 v13, v10, s13, v11
	v_pack_b32_f16 v1, v1, v108
	v_pack_b32_f16 v12, v12, v13
	ds_write2_b32 v169, v158, v159 offset1:50
	ds_write2_b32 v171, v1, v12 offset1:50
	v_fma_f16 v0, v157, s13, v0
	v_fma_f16 v1, v10, s14, v11
	v_pack_b32_f16 v0, v0, v1
	ds_write_b32 v171, v0 offset:400
	v_lshrrev_b32_e32 v0, 16, v2
	v_add_f16_e32 v11, v14, v16
	v_add_f16_e32 v1, v0, v14
	v_fma_f16 v0, v11, -0.5, v0
	v_add_f16_e32 v11, v2, v15
	v_add_f16_e32 v12, v15, v17
	;; [unrolled: 1-line block ×3, first 2 shown]
	v_sub_f16_e32 v10, v14, v16
	v_add_f16_e32 v11, v11, v17
	v_sub_f16_e32 v13, v15, v17
	v_fma_f16 v2, v12, -0.5, v2
	v_pack_b32_f16 v1, v11, v1
	v_fma_f16 v11, v10, s14, v2
	v_fma_f16 v12, v13, s13, v0
	v_pack_b32_f16 v11, v11, v12
	ds_write2_b32 v172, v1, v11 offset1:50
	v_fma_f16 v1, v10, s13, v2
	v_fma_f16 v0, v13, s14, v0
	v_pack_b32_f16 v0, v1, v0
	ds_write_b32 v172, v0 offset:400
	v_add_f16_e32 v0, v18, v20
	v_lshrrev_b32_e32 v1, 16, v3
	v_fma_f16 v0, v0, -0.5, v3
	v_add_f16_e32 v2, v3, v18
	v_add_f16_e32 v3, v1, v19
	;; [unrolled: 1-line block ×4, first 2 shown]
	v_sub_f16_e32 v10, v19, v21
	v_fma_f16 v1, v11, -0.5, v1
	v_add_f16_e32 v2, v2, v20
	v_sub_f16_e32 v11, v18, v20
	v_pack_b32_f16 v2, v2, v3
	v_fma_f16 v3, v10, s14, v0
	v_fma_f16 v12, v11, s13, v1
	;; [unrolled: 1-line block ×4, first 2 shown]
	v_pack_b32_f16 v3, v3, v12
	v_pack_b32_f16 v0, v0, v1
	ds_write2_b32 v173, v2, v3 offset1:50
	ds_write_b32 v173, v0 offset:400
	v_lshrrev_b32_e32 v0, 16, v4
	v_add_f16_e32 v3, v22, v25
	v_add_f16_e32 v1, v0, v22
	v_fma_f16 v0, v3, -0.5, v0
	v_add_f16_e32 v3, v4, v23
	v_add_f16_e32 v1, v1, v25
	;; [unrolled: 1-line block ×4, first 2 shown]
	v_sub_f16_e32 v2, v22, v25
	v_sub_f16_e32 v11, v23, v26
	v_pack_b32_f16 v1, v3, v1
	v_fma_f16 v3, v10, -0.5, v4
	v_fma_f16 v4, v2, s14, v3
	v_fma_f16 v10, v11, s13, v0
	v_pack_b32_f16 v4, v4, v10
	ds_write2_b32 v174, v1, v4 offset1:50
	v_fma_f16 v1, v2, s13, v3
	v_fma_f16 v0, v11, s14, v0
	v_pack_b32_f16 v0, v1, v0
	ds_write_b32 v174, v0 offset:400
	v_add_f16_e32 v0, v27, v29
	v_lshrrev_b32_e32 v1, 16, v5
	v_fma_f16 v0, v0, -0.5, v5
	v_add_f16_e32 v2, v5, v27
	v_add_f16_e32 v3, v1, v28
	;; [unrolled: 1-line block ×4, first 2 shown]
	v_sub_f16_e32 v4, v28, v30
	v_fma_f16 v1, v5, -0.5, v1
	v_add_f16_e32 v2, v2, v29
	v_sub_f16_e32 v5, v27, v29
	v_pack_b32_f16 v2, v2, v3
	v_fma_f16 v3, v4, s14, v0
	v_fma_f16 v10, v5, s13, v1
	;; [unrolled: 1-line block ×4, first 2 shown]
	v_pack_b32_f16 v3, v3, v10
	v_pack_b32_f16 v0, v0, v1
	ds_write2_b32 v175, v2, v3 offset1:50
	ds_write_b32 v175, v0 offset:400
	v_lshrrev_b32_e32 v0, 16, v6
	v_add_f16_e32 v3, v31, v33
	v_add_f16_e32 v1, v0, v31
	v_fma_f16 v0, v3, -0.5, v0
	v_add_f16_e32 v3, v6, v32
	v_add_f16_e32 v1, v1, v33
	;; [unrolled: 1-line block ×4, first 2 shown]
	v_sub_f16_e32 v2, v31, v33
	v_sub_f16_e32 v5, v32, v34
	v_pack_b32_f16 v1, v3, v1
	v_fma_f16 v3, v4, -0.5, v6
	v_fma_f16 v4, v2, s14, v3
	v_fma_f16 v6, v5, s13, v0
	v_pack_b32_f16 v4, v4, v6
	ds_write2_b32 v176, v1, v4 offset1:50
	v_fma_f16 v1, v2, s13, v3
	v_fma_f16 v0, v5, s14, v0
	v_pack_b32_f16 v0, v1, v0
	v_lshrrev_b32_e32 v1, 16, v7
	ds_write_b32 v176, v0 offset:400
	v_add_f16_e32 v0, v45, v46
	v_add_f16_e32 v2, v7, v45
	;; [unrolled: 1-line block ×4, first 2 shown]
	v_fma_f16 v0, v0, -0.5, v7
	v_add_f16_e32 v3, v3, v42
	v_sub_f16_e32 v4, v41, v42
	v_fma_f16 v1, v5, -0.5, v1
	v_add_f16_e32 v2, v2, v46
	v_sub_f16_e32 v5, v45, v46
	v_pack_b32_f16 v2, v2, v3
	v_fma_f16 v3, v4, s14, v0
	v_fma_f16 v6, v5, s13, v1
	;; [unrolled: 1-line block ×4, first 2 shown]
	v_pack_b32_f16 v3, v3, v6
	v_pack_b32_f16 v0, v0, v1
	ds_write2_b32 v177, v2, v3 offset1:50
	ds_write_b32 v177, v0 offset:400
	v_lshrrev_b32_e32 v0, 16, v8
	v_add_f16_e32 v3, v49, v50
	v_add_f16_e32 v1, v0, v49
	v_fma_f16 v0, v3, -0.5, v0
	v_add_f16_e32 v3, v8, v43
	v_add_f16_e32 v1, v1, v50
	;; [unrolled: 1-line block ×4, first 2 shown]
	v_sub_f16_e32 v2, v49, v50
	v_sub_f16_e32 v5, v43, v44
	v_pack_b32_f16 v1, v3, v1
	v_fma_f16 v3, v4, -0.5, v8
	v_fma_f16 v4, v2, s14, v3
	v_fma_f16 v6, v5, s13, v0
	v_pack_b32_f16 v4, v4, v6
	ds_write2_b32 v178, v1, v4 offset1:50
	v_fma_f16 v1, v2, s13, v3
	v_fma_f16 v0, v5, s14, v0
	v_pack_b32_f16 v0, v1, v0
	v_lshrrev_b32_e32 v1, 16, v9
	ds_write_b32 v178, v0 offset:400
	v_add_f16_e32 v0, v53, v54
	v_add_f16_e32 v2, v9, v53
	;; [unrolled: 1-line block ×4, first 2 shown]
	v_fma_f16 v0, v0, -0.5, v9
	v_add_f16_e32 v3, v3, v40
	v_sub_f16_e32 v4, v39, v40
	v_fma_f16 v1, v5, -0.5, v1
	v_add_f16_e32 v2, v2, v54
	v_sub_f16_e32 v5, v53, v54
	v_pack_b32_f16 v2, v2, v3
	v_fma_f16 v3, v4, s14, v0
	v_fma_f16 v6, v5, s13, v1
	;; [unrolled: 1-line block ×4, first 2 shown]
	v_pack_b32_f16 v3, v3, v6
	v_pack_b32_f16 v0, v0, v1
	ds_write2_b32 v179, v2, v3 offset1:50
	ds_write_b32 v179, v0 offset:400
	s_waitcnt lgkmcnt(0)
	s_barrier
	ds_read2_b32 v[0:1], v133 offset0:70 offset1:205
	ds_read2_b32 v[2:3], v148 offset0:12 offset1:147
	s_waitcnt lgkmcnt(1)
	v_lshrrev_b32_e32 v4, 16, v0
	v_mul_f16_sdwa v5, v51, v0 dst_sel:DWORD dst_unused:UNUSED_PAD src0_sel:WORD_1 src1_sel:DWORD
	v_fma_f16 v5, v51, v4, -v5
	v_mul_f16_sdwa v4, v51, v4 dst_sel:DWORD dst_unused:UNUSED_PAD src0_sel:WORD_1 src1_sel:DWORD
	v_fma_f16 v4, v51, v0, v4
	s_waitcnt lgkmcnt(0)
	v_lshrrev_b32_e32 v0, 16, v2
	v_mul_f16_sdwa v6, v52, v2 dst_sel:DWORD dst_unused:UNUSED_PAD src0_sel:WORD_1 src1_sel:DWORD
	v_fma_f16 v6, v52, v0, -v6
	v_mul_f16_sdwa v0, v52, v0 dst_sel:DWORD dst_unused:UNUSED_PAD src0_sel:WORD_1 src1_sel:DWORD
	v_fma_f16 v7, v52, v2, v0
	v_lshrrev_b32_e32 v0, 16, v1
	v_mul_f16_sdwa v2, v47, v0 dst_sel:DWORD dst_unused:UNUSED_PAD src0_sel:WORD_1 src1_sel:DWORD
	v_fma_f16 v10, v47, v1, v2
	v_mul_f16_sdwa v1, v47, v1 dst_sel:DWORD dst_unused:UNUSED_PAD src0_sel:WORD_1 src1_sel:DWORD
	v_lshrrev_b32_e32 v2, 16, v3
	v_fma_f16 v11, v47, v0, -v1
	ds_read2_b32 v[0:1], v152 offset0:84 offset1:219
	v_mul_f16_sdwa v8, v48, v2 dst_sel:DWORD dst_unused:UNUSED_PAD src0_sel:WORD_1 src1_sel:DWORD
	v_fma_f16 v12, v48, v3, v8
	v_mul_f16_sdwa v3, v48, v3 dst_sel:DWORD dst_unused:UNUSED_PAD src0_sel:WORD_1 src1_sel:DWORD
	v_fma_f16 v13, v48, v2, -v3
	ds_read2_b32 v[2:3], v129 offset0:26 offset1:161
	s_waitcnt lgkmcnt(1)
	v_lshrrev_b32_e32 v8, 16, v0
	v_mul_f16_sdwa v9, v37, v0 dst_sel:DWORD dst_unused:UNUSED_PAD src0_sel:WORD_1 src1_sel:DWORD
	v_fma_f16 v14, v37, v8, -v9
	v_mul_f16_sdwa v8, v37, v8 dst_sel:DWORD dst_unused:UNUSED_PAD src0_sel:WORD_1 src1_sel:DWORD
	v_fma_f16 v15, v37, v0, v8
	s_waitcnt lgkmcnt(0)
	v_lshrrev_b32_e32 v0, 16, v2
	v_mul_f16_sdwa v8, v38, v2 dst_sel:DWORD dst_unused:UNUSED_PAD src0_sel:WORD_1 src1_sel:DWORD
	v_fma_f16 v16, v38, v0, -v8
	v_mul_f16_sdwa v0, v38, v0 dst_sel:DWORD dst_unused:UNUSED_PAD src0_sel:WORD_1 src1_sel:DWORD
	v_fma_f16 v17, v38, v2, v0
	v_lshrrev_b32_e32 v0, 16, v1
	v_mul_f16_sdwa v2, v35, v0 dst_sel:DWORD dst_unused:UNUSED_PAD src0_sel:WORD_1 src1_sel:DWORD
	v_fma_f16 v18, v35, v1, v2
	v_mul_f16_sdwa v1, v35, v1 dst_sel:DWORD dst_unused:UNUSED_PAD src0_sel:WORD_1 src1_sel:DWORD
	v_lshrrev_b32_e32 v2, 16, v3
	v_fma_f16 v19, v35, v0, -v1
	ds_read2_b32 v[0:1], v151 offset0:98 offset1:233
	v_mul_f16_sdwa v8, v36, v2 dst_sel:DWORD dst_unused:UNUSED_PAD src0_sel:WORD_1 src1_sel:DWORD
	v_fma_f16 v20, v36, v3, v8
	v_mul_f16_sdwa v3, v36, v3 dst_sel:DWORD dst_unused:UNUSED_PAD src0_sel:WORD_1 src1_sel:DWORD
	v_fma_f16 v21, v36, v2, -v3
	;; [unrolled: 24-line block ×4, first 2 shown]
	ds_read2_b32 v[2:3], v124 offset0:68 offset1:203
	s_waitcnt lgkmcnt(1)
	v_lshrrev_b32_e32 v8, 16, v0
	v_mul_f16_sdwa v9, v63, v0 dst_sel:DWORD dst_unused:UNUSED_PAD src0_sel:WORD_1 src1_sel:DWORD
	v_fma_f16 v39, v63, v8, -v9
	v_mul_f16_sdwa v8, v63, v8 dst_sel:DWORD dst_unused:UNUSED_PAD src0_sel:WORD_1 src1_sel:DWORD
	v_fma_f16 v40, v63, v0, v8
	s_waitcnt lgkmcnt(0)
	v_lshrrev_b32_e32 v0, 16, v2
	v_mul_f16_sdwa v8, v64, v2 dst_sel:DWORD dst_unused:UNUSED_PAD src0_sel:WORD_1 src1_sel:DWORD
	v_fma_f16 v41, v64, v0, -v8
	v_mul_f16_sdwa v0, v64, v0 dst_sel:DWORD dst_unused:UNUSED_PAD src0_sel:WORD_1 src1_sel:DWORD
	v_fma_f16 v42, v64, v2, v0
	v_lshrrev_b32_e32 v0, 16, v1
	v_mul_f16_sdwa v2, v59, v0 dst_sel:DWORD dst_unused:UNUSED_PAD src0_sel:WORD_1 src1_sel:DWORD
	v_fma_f16 v43, v59, v1, v2
	v_mul_f16_sdwa v1, v59, v1 dst_sel:DWORD dst_unused:UNUSED_PAD src0_sel:WORD_1 src1_sel:DWORD
	v_fma_f16 v44, v59, v0, -v1
	ds_read2_b32 v[0:1], v149 offset1:135
	v_lshrrev_b32_e32 v2, 16, v3
	v_mul_f16_sdwa v8, v60, v2 dst_sel:DWORD dst_unused:UNUSED_PAD src0_sel:WORD_1 src1_sel:DWORD
	v_fma_f16 v45, v60, v3, v8
	v_mul_f16_sdwa v3, v60, v3 dst_sel:DWORD dst_unused:UNUSED_PAD src0_sel:WORD_1 src1_sel:DWORD
	v_fma_f16 v46, v60, v2, -v3
	s_waitcnt lgkmcnt(0)
	v_lshrrev_b32_e32 v2, 16, v0
	v_add_f16_e32 v3, v2, v5
	v_sub_f16_e32 v47, v5, v6
	v_add_f16_e32 v5, v5, v6
	v_fma_f16 v48, v5, -0.5, v2
	v_add_f16_e32 v2, v0, v4
	v_add_f16_e32 v5, v4, v7
	;; [unrolled: 1-line block ×4, first 2 shown]
	v_sub_f16_e32 v49, v4, v7
	v_fma_f16 v0, v5, -0.5, v0
	v_pack_b32_f16 v50, v2, v3
	v_fma_f16 v2, v47, s14, v0
	v_fma_f16 v3, v49, s13, v48
	v_pack_b32_f16 v51, v2, v3
	v_fma_f16 v0, v47, s13, v0
	v_fma_f16 v47, v49, s14, v48
	v_add_f16_e32 v48, v10, v12
	v_lshrrev_b32_e32 v49, 16, v1
	ds_read2_b32 v[2:3], v155 offset0:14 offset1:149
	ds_read2_b32 v[4:5], v135 offset0:28 offset1:163
	;; [unrolled: 1-line block ×4, first 2 shown]
	s_waitcnt lgkmcnt(0)
	s_barrier
	ds_write2_b32 v149, v50, v51 offset1:150
	v_fma_f16 v48, v48, -0.5, v1
	v_add_f16_e32 v1, v1, v10
	v_add_f16_e32 v50, v49, v11
	v_sub_f16_e32 v51, v11, v13
	v_add_f16_e32 v11, v11, v13
	v_add_f16_e32 v50, v50, v13
	v_fma_f16 v11, v11, -0.5, v49
	v_add_f16_e32 v1, v1, v12
	v_sub_f16_e32 v10, v10, v12
	v_pack_b32_f16 v0, v0, v47
	ds_write_b32 v149, v0 offset:1200
	v_pack_b32_f16 v0, v1, v50
	v_fma_f16 v1, v51, s14, v48
	v_fma_f16 v12, v10, s13, v11
	v_pack_b32_f16 v1, v1, v12
	ds_write2_b32 v180, v0, v1 offset1:150
	v_fma_f16 v0, v51, s13, v48
	v_fma_f16 v1, v10, s14, v11
	v_pack_b32_f16 v0, v0, v1
	ds_write_b32 v180, v0 offset:1200
	v_lshrrev_b32_e32 v0, 16, v2
	v_add_f16_e32 v11, v14, v16
	v_add_f16_e32 v1, v0, v14
	v_fma_f16 v0, v11, -0.5, v0
	v_add_f16_e32 v11, v2, v15
	v_add_f16_e32 v12, v15, v17
	;; [unrolled: 1-line block ×3, first 2 shown]
	v_sub_f16_e32 v10, v14, v16
	v_add_f16_e32 v11, v11, v17
	v_sub_f16_e32 v13, v15, v17
	v_fma_f16 v2, v12, -0.5, v2
	v_pack_b32_f16 v1, v11, v1
	v_fma_f16 v11, v10, s14, v2
	v_fma_f16 v12, v13, s13, v0
	v_pack_b32_f16 v11, v11, v12
	ds_write2_b32 v181, v1, v11 offset1:150
	v_fma_f16 v1, v10, s13, v2
	v_fma_f16 v0, v13, s14, v0
	v_pack_b32_f16 v0, v1, v0
	ds_write_b32 v181, v0 offset:1200
	v_add_f16_e32 v0, v18, v20
	v_lshrrev_b32_e32 v1, 16, v3
	v_fma_f16 v0, v0, -0.5, v3
	v_add_f16_e32 v2, v3, v18
	v_add_f16_e32 v3, v1, v19
	;; [unrolled: 1-line block ×4, first 2 shown]
	v_sub_f16_e32 v10, v19, v21
	v_fma_f16 v1, v11, -0.5, v1
	v_add_f16_e32 v2, v2, v20
	v_sub_f16_e32 v11, v18, v20
	v_pack_b32_f16 v2, v2, v3
	v_fma_f16 v3, v10, s14, v0
	v_fma_f16 v12, v11, s13, v1
	;; [unrolled: 1-line block ×4, first 2 shown]
	v_pack_b32_f16 v3, v3, v12
	v_pack_b32_f16 v0, v0, v1
	ds_write2_b32 v182, v2, v3 offset1:150
	ds_write_b32 v182, v0 offset:1200
	v_lshrrev_b32_e32 v0, 16, v4
	v_add_f16_e32 v3, v22, v25
	v_add_f16_e32 v1, v0, v22
	v_fma_f16 v0, v3, -0.5, v0
	v_add_f16_e32 v3, v4, v23
	v_add_f16_e32 v1, v1, v25
	;; [unrolled: 1-line block ×4, first 2 shown]
	v_sub_f16_e32 v2, v22, v25
	v_sub_f16_e32 v11, v23, v26
	v_pack_b32_f16 v1, v3, v1
	v_fma_f16 v3, v10, -0.5, v4
	v_fma_f16 v4, v2, s14, v3
	v_fma_f16 v10, v11, s13, v0
	v_pack_b32_f16 v4, v4, v10
	ds_write2_b32 v183, v1, v4 offset1:150
	v_fma_f16 v1, v2, s13, v3
	v_fma_f16 v0, v11, s14, v0
	v_pack_b32_f16 v0, v1, v0
	ds_write_b32 v183, v0 offset:1200
	v_add_f16_e32 v0, v27, v29
	v_lshrrev_b32_e32 v1, 16, v5
	v_fma_f16 v0, v0, -0.5, v5
	v_add_f16_e32 v2, v5, v27
	v_add_f16_e32 v3, v1, v28
	;; [unrolled: 1-line block ×4, first 2 shown]
	v_sub_f16_e32 v4, v28, v30
	v_fma_f16 v1, v5, -0.5, v1
	v_add_f16_e32 v2, v2, v29
	v_sub_f16_e32 v5, v27, v29
	v_pack_b32_f16 v2, v2, v3
	v_fma_f16 v3, v4, s14, v0
	v_fma_f16 v10, v5, s13, v1
	;; [unrolled: 1-line block ×4, first 2 shown]
	v_pack_b32_f16 v3, v3, v10
	v_pack_b32_f16 v0, v0, v1
	ds_write2_b32 v184, v2, v3 offset1:150
	ds_write_b32 v184, v0 offset:1200
	v_lshrrev_b32_e32 v0, 16, v6
	v_add_f16_e32 v3, v31, v33
	v_add_f16_e32 v1, v0, v31
	v_fma_f16 v0, v3, -0.5, v0
	v_add_f16_e32 v3, v6, v32
	v_add_f16_e32 v1, v1, v33
	;; [unrolled: 1-line block ×4, first 2 shown]
	v_sub_f16_e32 v2, v31, v33
	v_sub_f16_e32 v5, v32, v34
	v_pack_b32_f16 v1, v3, v1
	v_fma_f16 v3, v4, -0.5, v6
	v_fma_f16 v4, v2, s14, v3
	v_fma_f16 v6, v5, s13, v0
	v_pack_b32_f16 v4, v4, v6
	ds_write2_b32 v185, v1, v4 offset1:150
	v_fma_f16 v1, v2, s13, v3
	v_fma_f16 v0, v5, s14, v0
	v_pack_b32_f16 v0, v1, v0
	v_lshrrev_b32_e32 v1, 16, v7
	ds_write_b32 v185, v0 offset:1200
	v_add_f16_e32 v0, v35, v37
	v_add_f16_e32 v2, v7, v35
	;; [unrolled: 1-line block ×4, first 2 shown]
	v_fma_f16 v0, v0, -0.5, v7
	v_add_f16_e32 v3, v3, v38
	v_sub_f16_e32 v4, v36, v38
	v_fma_f16 v1, v5, -0.5, v1
	v_add_f16_e32 v2, v2, v37
	v_sub_f16_e32 v5, v35, v37
	v_pack_b32_f16 v2, v2, v3
	v_fma_f16 v3, v4, s14, v0
	v_fma_f16 v6, v5, s13, v1
	;; [unrolled: 1-line block ×4, first 2 shown]
	v_pack_b32_f16 v3, v3, v6
	v_pack_b32_f16 v0, v0, v1
	ds_write2_b32 v186, v2, v3 offset1:150
	ds_write_b32 v186, v0 offset:1200
	v_lshrrev_b32_e32 v0, 16, v8
	v_add_f16_e32 v3, v39, v41
	v_add_f16_e32 v1, v0, v39
	v_fma_f16 v0, v3, -0.5, v0
	v_add_f16_e32 v3, v8, v40
	v_add_f16_e32 v1, v1, v41
	;; [unrolled: 1-line block ×4, first 2 shown]
	v_sub_f16_e32 v2, v39, v41
	v_sub_f16_e32 v5, v40, v42
	v_pack_b32_f16 v1, v3, v1
	v_fma_f16 v3, v4, -0.5, v8
	v_fma_f16 v4, v2, s14, v3
	v_fma_f16 v6, v5, s13, v0
	v_pack_b32_f16 v4, v4, v6
	ds_write2_b32 v187, v1, v4 offset1:150
	v_fma_f16 v1, v2, s13, v3
	v_fma_f16 v0, v5, s14, v0
	v_pack_b32_f16 v0, v1, v0
	v_lshrrev_b32_e32 v1, 16, v9
	ds_write_b32 v187, v0 offset:1200
	v_add_f16_e32 v0, v43, v45
	v_add_f16_e32 v2, v9, v43
	;; [unrolled: 1-line block ×4, first 2 shown]
	v_fma_f16 v0, v0, -0.5, v9
	v_add_f16_e32 v3, v3, v46
	v_sub_f16_e32 v4, v44, v46
	v_fma_f16 v1, v5, -0.5, v1
	v_add_f16_e32 v2, v2, v45
	v_sub_f16_e32 v5, v43, v45
	v_pack_b32_f16 v2, v2, v3
	v_fma_f16 v3, v4, s14, v0
	v_fma_f16 v6, v5, s13, v1
	;; [unrolled: 1-line block ×4, first 2 shown]
	v_pack_b32_f16 v3, v3, v6
	v_pack_b32_f16 v0, v0, v1
	ds_write2_b32 v189, v2, v3 offset0:16 offset1:166
	ds_write_b32 v188, v0 offset:15600
	s_waitcnt lgkmcnt(0)
	s_barrier
	ds_read2_b32 v[0:1], v133 offset0:70 offset1:205
	ds_read2_b32 v[2:3], v148 offset0:12 offset1:147
	s_waitcnt lgkmcnt(1)
	v_lshrrev_b32_e32 v4, 16, v0
	v_mul_f16_sdwa v5, v61, v0 dst_sel:DWORD dst_unused:UNUSED_PAD src0_sel:WORD_1 src1_sel:DWORD
	v_fma_f16 v5, v61, v4, -v5
	v_mul_f16_sdwa v4, v61, v4 dst_sel:DWORD dst_unused:UNUSED_PAD src0_sel:WORD_1 src1_sel:DWORD
	v_fma_f16 v4, v61, v0, v4
	s_waitcnt lgkmcnt(0)
	v_lshrrev_b32_e32 v0, 16, v2
	v_mul_f16_sdwa v6, v62, v2 dst_sel:DWORD dst_unused:UNUSED_PAD src0_sel:WORD_1 src1_sel:DWORD
	v_fma_f16 v6, v62, v0, -v6
	v_mul_f16_sdwa v0, v62, v0 dst_sel:DWORD dst_unused:UNUSED_PAD src0_sel:WORD_1 src1_sel:DWORD
	v_fma_f16 v7, v62, v2, v0
	v_lshrrev_b32_e32 v0, 16, v1
	v_mul_f16_sdwa v2, v67, v0 dst_sel:DWORD dst_unused:UNUSED_PAD src0_sel:WORD_1 src1_sel:DWORD
	v_fma_f16 v8, v67, v1, v2
	v_mul_f16_sdwa v1, v67, v1 dst_sel:DWORD dst_unused:UNUSED_PAD src0_sel:WORD_1 src1_sel:DWORD
	v_lshrrev_b32_e32 v2, 16, v3
	v_fma_f16 v9, v67, v0, -v1
	ds_read2_b32 v[0:1], v152 offset0:84 offset1:219
	v_mul_f16_sdwa v10, v68, v2 dst_sel:DWORD dst_unused:UNUSED_PAD src0_sel:WORD_1 src1_sel:DWORD
	v_fma_f16 v10, v68, v3, v10
	v_mul_f16_sdwa v3, v68, v3 dst_sel:DWORD dst_unused:UNUSED_PAD src0_sel:WORD_1 src1_sel:DWORD
	v_fma_f16 v11, v68, v2, -v3
	ds_read2_b32 v[2:3], v129 offset0:26 offset1:161
	s_waitcnt lgkmcnt(1)
	v_lshrrev_b32_e32 v12, 16, v0
	v_mul_f16_sdwa v13, v93, v0 dst_sel:DWORD dst_unused:UNUSED_PAD src0_sel:WORD_1 src1_sel:DWORD
	v_fma_f16 v13, v93, v12, -v13
	v_mul_f16_sdwa v12, v93, v12 dst_sel:DWORD dst_unused:UNUSED_PAD src0_sel:WORD_1 src1_sel:DWORD
	v_fma_f16 v12, v93, v0, v12
	s_waitcnt lgkmcnt(0)
	v_lshrrev_b32_e32 v0, 16, v2
	v_mul_f16_sdwa v14, v94, v2 dst_sel:DWORD dst_unused:UNUSED_PAD src0_sel:WORD_1 src1_sel:DWORD
	v_fma_f16 v14, v94, v0, -v14
	v_mul_f16_sdwa v0, v94, v0 dst_sel:DWORD dst_unused:UNUSED_PAD src0_sel:WORD_1 src1_sel:DWORD
	v_fma_f16 v15, v94, v2, v0
	v_lshrrev_b32_e32 v0, 16, v1
	v_mul_f16_sdwa v2, v91, v0 dst_sel:DWORD dst_unused:UNUSED_PAD src0_sel:WORD_1 src1_sel:DWORD
	v_fma_f16 v16, v91, v1, v2
	v_mul_f16_sdwa v1, v91, v1 dst_sel:DWORD dst_unused:UNUSED_PAD src0_sel:WORD_1 src1_sel:DWORD
	v_lshrrev_b32_e32 v2, 16, v3
	v_fma_f16 v17, v91, v0, -v1
	ds_read2_b32 v[0:1], v151 offset0:98 offset1:233
	v_mul_f16_sdwa v18, v92, v2 dst_sel:DWORD dst_unused:UNUSED_PAD src0_sel:WORD_1 src1_sel:DWORD
	v_fma_f16 v18, v92, v3, v18
	v_mul_f16_sdwa v3, v92, v3 dst_sel:DWORD dst_unused:UNUSED_PAD src0_sel:WORD_1 src1_sel:DWORD
	v_fma_f16 v19, v92, v2, -v3
	;; [unrolled: 24-line block ×4, first 2 shown]
	ds_read2_b32 v[2:3], v124 offset0:68 offset1:203
	s_waitcnt lgkmcnt(1)
	v_lshrrev_b32_e32 v37, 16, v0
	v_mul_f16_sdwa v38, v89, v0 dst_sel:DWORD dst_unused:UNUSED_PAD src0_sel:WORD_1 src1_sel:DWORD
	v_fma_f16 v38, v89, v37, -v38
	v_mul_f16_sdwa v37, v89, v37 dst_sel:DWORD dst_unused:UNUSED_PAD src0_sel:WORD_1 src1_sel:DWORD
	v_fma_f16 v37, v89, v0, v37
	s_waitcnt lgkmcnt(0)
	v_lshrrev_b32_e32 v0, 16, v2
	v_mul_f16_sdwa v39, v90, v2 dst_sel:DWORD dst_unused:UNUSED_PAD src0_sel:WORD_1 src1_sel:DWORD
	v_fma_f16 v39, v90, v0, -v39
	v_mul_f16_sdwa v0, v90, v0 dst_sel:DWORD dst_unused:UNUSED_PAD src0_sel:WORD_1 src1_sel:DWORD
	v_fma_f16 v40, v90, v2, v0
	v_lshrrev_b32_e32 v0, 16, v1
	v_mul_f16_sdwa v2, v87, v0 dst_sel:DWORD dst_unused:UNUSED_PAD src0_sel:WORD_1 src1_sel:DWORD
	v_fma_f16 v41, v87, v1, v2
	v_mul_f16_sdwa v1, v87, v1 dst_sel:DWORD dst_unused:UNUSED_PAD src0_sel:WORD_1 src1_sel:DWORD
	v_fma_f16 v42, v87, v0, -v1
	ds_read2_b32 v[0:1], v149 offset1:135
	v_lshrrev_b32_e32 v2, 16, v3
	v_mul_f16_sdwa v43, v88, v2 dst_sel:DWORD dst_unused:UNUSED_PAD src0_sel:WORD_1 src1_sel:DWORD
	v_fma_f16 v43, v88, v3, v43
	v_mul_f16_sdwa v3, v88, v3 dst_sel:DWORD dst_unused:UNUSED_PAD src0_sel:WORD_1 src1_sel:DWORD
	v_fma_f16 v44, v88, v2, -v3
	v_add_f16_e32 v2, v4, v7
	s_waitcnt lgkmcnt(0)
	v_fma_f16 v2, v2, -0.5, v0
	v_sub_f16_e32 v3, v5, v6
	v_fma_f16 v45, v3, s14, v2
	v_fma_f16 v46, v3, s13, v2
	v_lshrrev_b32_e32 v2, 16, v0
	v_add_f16_e32 v3, v2, v5
	v_add_f16_e32 v5, v5, v6
	v_fma_f16 v2, v5, -0.5, v2
	v_add_f16_e32 v0, v0, v4
	v_sub_f16_e32 v4, v4, v7
	v_fma_f16 v5, v4, s13, v2
	v_add_f16_e32 v3, v3, v6
	v_add_f16_e32 v0, v0, v7
	v_fma_f16 v47, v4, s14, v2
	v_add_f16_e32 v2, v8, v10
	v_lshrrev_b32_e32 v49, 16, v1
	v_pack_b32_f16 v45, v45, v5
	v_fma_f16 v48, v2, -0.5, v1
	v_add_f16_e32 v50, v1, v8
	v_pack_b32_f16 v51, v0, v3
	ds_read2_b32 v[0:1], v155 offset0:14 offset1:149
	ds_read2_b32 v[2:3], v135 offset0:28 offset1:163
	;; [unrolled: 1-line block ×4, first 2 shown]
	s_waitcnt lgkmcnt(0)
	s_barrier
	ds_write_b32 v149, v45 offset:1800
	v_pack_b32_f16 v45, v46, v47
	v_add_f16_e32 v46, v49, v9
	ds_write_b32 v149, v45 offset:3600
	v_add_f16_e32 v45, v50, v10
	v_add_f16_e32 v46, v46, v11
	v_pack_b32_f16 v45, v45, v46
	v_sub_f16_e32 v8, v8, v10
	v_lshrrev_b32_e32 v10, 16, v0
	ds_write2_b32 v149, v51, v45 offset1:135
	v_sub_f16_e32 v45, v9, v11
	v_add_f16_e32 v9, v9, v11
	v_add_f16_e32 v11, v10, v13
	v_sub_f16_e32 v46, v13, v14
	v_add_f16_e32 v13, v13, v14
	v_fma_f16 v10, v13, -0.5, v10
	v_add_f16_e32 v13, v0, v12
	v_add_f16_e32 v11, v11, v14
	;; [unrolled: 1-line block ×4, first 2 shown]
	v_fma_f16 v9, v9, -0.5, v49
	v_sub_f16_e32 v12, v12, v15
	v_pack_b32_f16 v11, v13, v11
	v_fma_f16 v0, v14, -0.5, v0
	v_fma_f16 v15, v45, s14, v48
	v_fma_f16 v47, v8, s13, v9
	ds_write_b32 v149, v11 offset:1080
	v_fma_f16 v11, v46, s14, v0
	v_fma_f16 v13, v12, s13, v10
	v_pack_b32_f16 v15, v15, v47
	v_pack_b32_f16 v11, v11, v13
	ds_write2_b32 v135, v15, v11 offset0:73 offset1:208
	v_fma_f16 v11, v45, s13, v48
	v_fma_f16 v8, v8, s14, v9
	;; [unrolled: 1-line block ×4, first 2 shown]
	v_pack_b32_f16 v8, v11, v8
	v_pack_b32_f16 v0, v0, v9
	ds_write2_b32 v153, v8, v0 offset0:11 offset1:146
	v_add_f16_e32 v0, v16, v18
	v_fma_f16 v0, v0, -0.5, v1
	v_lshrrev_b32_e32 v8, 16, v1
	v_sub_f16_e32 v9, v17, v19
	v_add_f16_e32 v1, v1, v16
	v_fma_f16 v10, v9, s14, v0
	v_fma_f16 v0, v9, s13, v0
	v_add_f16_e32 v9, v8, v17
	v_add_f16_e32 v11, v17, v19
	v_add_f16_e32 v9, v9, v19
	v_fma_f16 v8, v11, -0.5, v8
	v_add_f16_e32 v1, v1, v18
	v_sub_f16_e32 v11, v16, v18
	v_fma_f16 v12, v11, s13, v8
	v_fma_f16 v8, v11, s14, v8
	v_pack_b32_f16 v1, v1, v9
	ds_write_b32 v190, v1
	v_pack_b32_f16 v1, v10, v12
	v_pack_b32_f16 v0, v0, v8
	ds_write_b32 v190, v1 offset:1800
	ds_write_b32 v190, v0 offset:3600
	v_add_f16_e32 v0, v20, v23
	v_lshrrev_b32_e32 v1, 16, v2
	v_add_f16_e32 v8, v21, v22
	v_fma_f16 v0, v0, -0.5, v2
	v_fma_f16 v8, v8, -0.5, v1
	v_sub_f16_e32 v9, v21, v22
	v_sub_f16_e32 v11, v20, v23
	v_fma_f16 v10, v9, s13, v0
	v_fma_f16 v12, v11, s14, v8
	v_pack_b32_f16 v10, v10, v12
	v_add_f16_e32 v12, v25, v27
	v_lshrrev_b32_e32 v13, 16, v3
	v_add_f16_e32 v14, v26, v28
	v_fma_f16 v12, v12, -0.5, v3
	v_fma_f16 v14, v14, -0.5, v13
	v_sub_f16_e32 v15, v26, v28
	v_sub_f16_e32 v17, v25, v27
	v_fma_f16 v16, v15, s13, v12
	v_fma_f16 v18, v17, s14, v14
	v_pack_b32_f16 v16, v16, v18
	ds_write2_b32 v191, v10, v16 offset0:36 offset1:171
	v_add_f16_e32 v2, v2, v20
	v_add_f16_e32 v3, v3, v25
	;; [unrolled: 1-line block ×8, first 2 shown]
	v_pack_b32_f16 v1, v2, v1
	v_pack_b32_f16 v2, v3, v10
	ds_write2_b32 v170, v1, v2 offset0:32 offset1:167
	v_fma_f16 v0, v9, s14, v0
	v_fma_f16 v1, v11, s13, v8
	;; [unrolled: 1-line block ×4, first 2 shown]
	v_pack_b32_f16 v0, v0, v1
	v_pack_b32_f16 v1, v2, v3
	ds_write2_b32 v151, v0, v1 offset0:98 offset1:233
	v_add_f16_e32 v0, v29, v32
	v_fma_f16 v0, v0, -0.5, v4
	v_sub_f16_e32 v1, v30, v31
	v_fma_f16 v2, v1, s14, v0
	v_fma_f16 v0, v1, s13, v0
	v_lshrrev_b32_e32 v1, 16, v4
	v_add_f16_e32 v8, v30, v31
	v_add_f16_e32 v3, v1, v30
	v_fma_f16 v1, v8, -0.5, v1
	v_sub_f16_e32 v8, v29, v32
	v_add_f16_e32 v4, v4, v29
	v_fma_f16 v9, v8, s13, v1
	v_fma_f16 v1, v8, s14, v1
	v_add_f16_e32 v3, v3, v31
	v_add_f16_e32 v4, v4, v32
	v_pack_b32_f16 v0, v0, v1
	v_pack_b32_f16 v3, v4, v3
	;; [unrolled: 1-line block ×3, first 2 shown]
	ds_write_b32 v195, v0 offset:3600
	v_add_f16_e32 v0, v33, v35
	ds_write_b32 v195, v3
	ds_write_b32 v195, v2 offset:1800
	v_fma_f16 v0, v0, -0.5, v5
	v_lshrrev_b32_e32 v1, 16, v5
	v_add_f16_e32 v2, v5, v33
	v_sub_f16_e32 v3, v34, v36
	v_add_f16_e32 v5, v34, v36
	v_fma_f16 v4, v3, s14, v0
	v_fma_f16 v0, v3, s13, v0
	v_add_f16_e32 v3, v1, v34
	v_fma_f16 v1, v5, -0.5, v1
	v_sub_f16_e32 v5, v33, v35
	v_fma_f16 v8, v5, s13, v1
	v_fma_f16 v1, v5, s14, v1
	v_add_f16_e32 v3, v3, v36
	v_add_f16_e32 v2, v2, v35
	v_pack_b32_f16 v0, v0, v1
	v_pack_b32_f16 v2, v2, v3
	ds_write_b32 v194, v0 offset:14400
	v_add_f16_e32 v0, v37, v40
	ds_write_b32 v194, v2 offset:10800
	v_pack_b32_f16 v2, v4, v8
	v_fma_f16 v0, v0, -0.5, v6
	v_sub_f16_e32 v1, v38, v39
	ds_write_b32 v194, v2 offset:12600
	v_fma_f16 v2, v1, s14, v0
	v_fma_f16 v0, v1, s13, v0
	v_lshrrev_b32_e32 v1, 16, v6
	v_add_f16_e32 v4, v38, v39
	v_add_f16_e32 v3, v1, v38
	v_fma_f16 v1, v4, -0.5, v1
	v_sub_f16_e32 v5, v37, v40
	v_add_f16_e32 v4, v6, v37
	v_fma_f16 v6, v5, s13, v1
	v_fma_f16 v1, v5, s14, v1
	v_add_f16_e32 v3, v3, v39
	v_add_f16_e32 v4, v4, v40
	v_pack_b32_f16 v0, v0, v1
	v_pack_b32_f16 v3, v4, v3
	ds_write_b32 v193, v0 offset:14400
	v_add_f16_e32 v0, v41, v43
	ds_write_b32 v193, v3 offset:10800
	v_pack_b32_f16 v2, v2, v6
	v_fma_f16 v0, v0, -0.5, v7
	v_lshrrev_b32_e32 v1, 16, v7
	v_sub_f16_e32 v3, v42, v44
	ds_write_b32 v193, v2 offset:12600
	v_add_f16_e32 v2, v7, v41
	v_fma_f16 v4, v3, s14, v0
	v_fma_f16 v0, v3, s13, v0
	v_add_f16_e32 v3, v1, v42
	v_add_f16_e32 v5, v42, v44
	;; [unrolled: 1-line block ×3, first 2 shown]
	v_fma_f16 v1, v5, -0.5, v1
	v_add_f16_e32 v2, v2, v43
	v_sub_f16_e32 v5, v41, v43
	v_fma_f16 v6, v5, s13, v1
	v_fma_f16 v1, v5, s14, v1
	v_pack_b32_f16 v2, v2, v3
	ds_write_b32 v192, v2 offset:10800
	v_pack_b32_f16 v2, v4, v6
	v_pack_b32_f16 v0, v0, v1
	ds_write_b32 v192, v2 offset:12600
	ds_write_b32 v192, v0 offset:14400
	s_waitcnt lgkmcnt(0)
	s_barrier
	ds_read2_b32 v[0:1], v133 offset0:70 offset1:205
	ds_read2_b32 v[2:3], v148 offset0:12 offset1:147
	s_waitcnt lgkmcnt(1)
	v_lshrrev_b32_e32 v4, 16, v0
	v_mul_f16_sdwa v5, v85, v4 dst_sel:DWORD dst_unused:UNUSED_PAD src0_sel:WORD_1 src1_sel:DWORD
	v_fma_f16 v5, v85, v0, v5
	v_mul_f16_sdwa v0, v85, v0 dst_sel:DWORD dst_unused:UNUSED_PAD src0_sel:WORD_1 src1_sel:DWORD
	v_fma_f16 v4, v85, v4, -v0
	s_waitcnt lgkmcnt(0)
	v_lshrrev_b32_e32 v0, 16, v2
	v_mul_f16_sdwa v6, v86, v2 dst_sel:DWORD dst_unused:UNUSED_PAD src0_sel:WORD_1 src1_sel:DWORD
	v_fma_f16 v6, v86, v0, -v6
	v_mul_f16_sdwa v0, v86, v0 dst_sel:DWORD dst_unused:UNUSED_PAD src0_sel:WORD_1 src1_sel:DWORD
	v_fma_f16 v7, v86, v2, v0
	v_lshrrev_b32_e32 v0, 16, v1
	v_mul_f16_sdwa v2, v81, v0 dst_sel:DWORD dst_unused:UNUSED_PAD src0_sel:WORD_1 src1_sel:DWORD
	v_fma_f16 v8, v81, v1, v2
	v_mul_f16_sdwa v1, v81, v1 dst_sel:DWORD dst_unused:UNUSED_PAD src0_sel:WORD_1 src1_sel:DWORD
	v_lshrrev_b32_e32 v2, 16, v3
	v_fma_f16 v9, v81, v0, -v1
	ds_read2_b32 v[0:1], v152 offset0:84 offset1:219
	v_mul_f16_sdwa v10, v82, v2 dst_sel:DWORD dst_unused:UNUSED_PAD src0_sel:WORD_1 src1_sel:DWORD
	v_fma_f16 v10, v82, v3, v10
	v_mul_f16_sdwa v3, v82, v3 dst_sel:DWORD dst_unused:UNUSED_PAD src0_sel:WORD_1 src1_sel:DWORD
	v_fma_f16 v11, v82, v2, -v3
	ds_read2_b32 v[2:3], v129 offset0:26 offset1:161
	s_waitcnt lgkmcnt(1)
	v_lshrrev_b32_e32 v12, 16, v0
	v_mul_f16_sdwa v13, v77, v0 dst_sel:DWORD dst_unused:UNUSED_PAD src0_sel:WORD_1 src1_sel:DWORD
	v_fma_f16 v13, v77, v12, -v13
	v_mul_f16_sdwa v12, v77, v12 dst_sel:DWORD dst_unused:UNUSED_PAD src0_sel:WORD_1 src1_sel:DWORD
	v_fma_f16 v12, v77, v0, v12
	s_waitcnt lgkmcnt(0)
	v_lshrrev_b32_e32 v0, 16, v2
	v_mul_f16_sdwa v14, v78, v2 dst_sel:DWORD dst_unused:UNUSED_PAD src0_sel:WORD_1 src1_sel:DWORD
	v_fma_f16 v14, v78, v0, -v14
	v_mul_f16_sdwa v0, v78, v0 dst_sel:DWORD dst_unused:UNUSED_PAD src0_sel:WORD_1 src1_sel:DWORD
	v_fma_f16 v15, v78, v2, v0
	v_lshrrev_b32_e32 v0, 16, v1
	v_mul_f16_sdwa v2, v75, v0 dst_sel:DWORD dst_unused:UNUSED_PAD src0_sel:WORD_1 src1_sel:DWORD
	v_fma_f16 v16, v75, v1, v2
	v_mul_f16_sdwa v1, v75, v1 dst_sel:DWORD dst_unused:UNUSED_PAD src0_sel:WORD_1 src1_sel:DWORD
	v_lshrrev_b32_e32 v2, 16, v3
	v_fma_f16 v17, v75, v0, -v1
	ds_read2_b32 v[0:1], v151 offset0:98 offset1:233
	v_mul_f16_sdwa v18, v76, v2 dst_sel:DWORD dst_unused:UNUSED_PAD src0_sel:WORD_1 src1_sel:DWORD
	v_fma_f16 v18, v76, v3, v18
	v_mul_f16_sdwa v3, v76, v3 dst_sel:DWORD dst_unused:UNUSED_PAD src0_sel:WORD_1 src1_sel:DWORD
	v_fma_f16 v19, v76, v2, -v3
	ds_read2_b32 v[2:3], v146 offset0:40 offset1:175
	s_waitcnt lgkmcnt(1)
	v_lshrrev_b32_e32 v20, 16, v0
	v_mul_f16_sdwa v21, v97, v0 dst_sel:DWORD dst_unused:UNUSED_PAD src0_sel:WORD_1 src1_sel:DWORD
	v_fma_f16 v21, v97, v20, -v21
	v_mul_f16_sdwa v20, v97, v20 dst_sel:DWORD dst_unused:UNUSED_PAD src0_sel:WORD_1 src1_sel:DWORD
	v_fma_f16 v20, v97, v0, v20
	;; [unrolled: 24-line block ×4, first 2 shown]
	s_waitcnt lgkmcnt(0)
	v_lshrrev_b32_e32 v0, 16, v2
	v_mul_f16_sdwa v39, v106, v2 dst_sel:DWORD dst_unused:UNUSED_PAD src0_sel:WORD_1 src1_sel:DWORD
	v_fma_f16 v39, v106, v0, -v39
	v_mul_f16_sdwa v0, v106, v0 dst_sel:DWORD dst_unused:UNUSED_PAD src0_sel:WORD_1 src1_sel:DWORD
	v_fma_f16 v40, v106, v2, v0
	v_lshrrev_b32_e32 v0, 16, v1
	v_mul_f16_sdwa v2, v103, v0 dst_sel:DWORD dst_unused:UNUSED_PAD src0_sel:WORD_1 src1_sel:DWORD
	v_fma_f16 v41, v103, v1, v2
	v_mul_f16_sdwa v1, v103, v1 dst_sel:DWORD dst_unused:UNUSED_PAD src0_sel:WORD_1 src1_sel:DWORD
	v_fma_f16 v42, v103, v0, -v1
	ds_read2_b32 v[0:1], v149 offset1:135
	v_lshrrev_b32_e32 v2, 16, v3
	v_mul_f16_sdwa v43, v104, v2 dst_sel:DWORD dst_unused:UNUSED_PAD src0_sel:WORD_1 src1_sel:DWORD
	v_fma_f16 v43, v104, v3, v43
	v_mul_f16_sdwa v3, v104, v3 dst_sel:DWORD dst_unused:UNUSED_PAD src0_sel:WORD_1 src1_sel:DWORD
	v_fma_f16 v44, v104, v2, -v3
	v_add_f16_e32 v2, v5, v7
	s_waitcnt lgkmcnt(0)
	v_fma_f16 v2, v2, -0.5, v0
	v_sub_f16_e32 v3, v4, v6
	v_fma_f16 v45, v3, s14, v2
	v_fma_f16 v46, v3, s13, v2
	v_lshrrev_b32_e32 v2, 16, v0
	v_add_f16_e32 v3, v2, v4
	v_add_f16_e32 v4, v4, v6
	v_fma_f16 v2, v4, -0.5, v2
	v_sub_f16_e32 v4, v5, v7
	v_add_f16_e32 v0, v0, v5
	v_fma_f16 v5, v4, s13, v2
	v_add_f16_e32 v3, v3, v6
	v_add_f16_e32 v0, v0, v7
	v_fma_f16 v47, v4, s14, v2
	v_add_f16_e32 v2, v8, v10
	v_lshrrev_b32_e32 v49, 16, v1
	v_pack_b32_f16 v45, v45, v5
	v_fma_f16 v48, v2, -0.5, v1
	v_add_f16_e32 v50, v1, v8
	v_pack_b32_f16 v51, v0, v3
	ds_read2_b32 v[0:1], v155 offset0:14 offset1:149
	ds_read2_b32 v[2:3], v135 offset0:28 offset1:163
	;; [unrolled: 1-line block ×4, first 2 shown]
	ds_write_b32 v149, v45 offset:5400
	v_pack_b32_f16 v45, v46, v47
	v_add_f16_e32 v46, v49, v9
	ds_write_b32 v149, v45 offset:10800
	v_add_f16_e32 v45, v50, v10
	v_add_f16_e32 v46, v46, v11
	v_pack_b32_f16 v45, v45, v46
	ds_write2_b32 v149, v51, v45 offset1:135
	v_sub_f16_e32 v45, v9, v11
	v_add_f16_e32 v9, v9, v11
	v_fma_f16 v9, v9, -0.5, v49
	v_sub_f16_e32 v8, v8, v10
	v_fma_f16 v10, v45, s14, v48
	v_fma_f16 v11, v8, s13, v9
	v_pack_b32_f16 v10, v10, v11
	v_add_f16_e32 v11, v12, v15
	s_waitcnt lgkmcnt(6)
	v_lshrrev_b32_e32 v46, 16, v0
	v_add_f16_e32 v47, v13, v14
	v_fma_f16 v11, v11, -0.5, v0
	v_fma_f16 v47, v47, -0.5, v46
	v_sub_f16_e32 v49, v13, v14
	v_sub_f16_e32 v51, v12, v15
	v_fma_f16 v50, v49, s14, v11
	v_fma_f16 v52, v51, s13, v47
	v_pack_b32_f16 v50, v50, v52
	ds_write2_b32 v170, v10, v50 offset0:77 offset1:212
	v_fma_f16 v10, v45, s13, v48
	v_fma_f16 v8, v8, s14, v9
	;; [unrolled: 1-line block ×4, first 2 shown]
	v_pack_b32_f16 v8, v10, v8
	v_pack_b32_f16 v9, v9, v11
	ds_write2_b32 v196, v8, v9 offset0:19 offset1:154
	v_add_f16_e32 v0, v0, v12
	v_add_f16_e32 v8, v46, v13
	;; [unrolled: 1-line block ×5, first 2 shown]
	v_lshrrev_b32_e32 v10, 16, v1
	v_fma_f16 v9, v9, -0.5, v1
	v_add_f16_e32 v1, v1, v16
	v_pack_b32_f16 v0, v0, v8
	v_add_f16_e32 v8, v10, v17
	v_add_f16_e32 v1, v1, v18
	;; [unrolled: 1-line block ×3, first 2 shown]
	v_pack_b32_f16 v1, v1, v8
	ds_write2_b32 v155, v0, v1 offset0:14 offset1:149
	v_add_f16_e32 v1, v17, v19
	v_sub_f16_e32 v0, v17, v19
	v_fma_f16 v1, v1, -0.5, v10
	v_sub_f16_e32 v8, v16, v18
	v_fma_f16 v10, v0, s14, v9
	v_fma_f16 v11, v8, s13, v1
	v_pack_b32_f16 v10, v10, v11
	v_add_f16_e32 v11, v20, v23
	s_waitcnt lgkmcnt(8)
	v_lshrrev_b32_e32 v12, 16, v2
	v_add_f16_e32 v13, v21, v22
	v_fma_f16 v11, v11, -0.5, v2
	v_fma_f16 v13, v13, -0.5, v12
	v_sub_f16_e32 v14, v21, v22
	v_sub_f16_e32 v16, v20, v23
	v_fma_f16 v0, v0, s13, v9
	v_fma_f16 v1, v8, s14, v1
	v_fma_f16 v8, v14, s13, v11
	v_fma_f16 v9, v16, s14, v13
	v_pack_b32_f16 v0, v0, v1
	v_pack_b32_f16 v1, v8, v9
	v_fma_f16 v15, v14, s14, v11
	v_fma_f16 v17, v16, s13, v13
	ds_write2_b32 v197, v0, v1 offset0:33 offset1:168
	v_add_f16_e32 v0, v2, v20
	v_add_f16_e32 v2, v25, v27
	v_pack_b32_f16 v15, v15, v17
	v_fma_f16 v2, v2, -0.5, v3
	v_lshrrev_b32_e32 v8, 16, v3
	v_sub_f16_e32 v9, v26, v28
	v_add_f16_e32 v11, v26, v28
	ds_write2_b32 v156, v10, v15 offset0:91 offset1:226
	v_fma_f16 v10, v9, s14, v2
	v_fma_f16 v2, v9, s13, v2
	v_add_f16_e32 v9, v8, v26
	v_fma_f16 v8, v11, -0.5, v8
	v_sub_f16_e32 v11, v25, v27
	v_add_f16_e32 v1, v12, v21
	v_fma_f16 v12, v11, s13, v8
	v_fma_f16 v8, v11, s14, v8
	v_add_f16_e32 v11, v29, v32
	s_waitcnt lgkmcnt(9)
	v_fma_f16 v11, v11, -0.5, v4
	v_sub_f16_e32 v13, v30, v31
	v_fma_f16 v14, v13, s14, v11
	v_fma_f16 v11, v13, s13, v11
	v_lshrrev_b32_e32 v13, 16, v4
	v_add_f16_e32 v16, v30, v31
	v_add_f16_e32 v3, v3, v25
	;; [unrolled: 1-line block ×3, first 2 shown]
	v_fma_f16 v13, v16, -0.5, v13
	v_sub_f16_e32 v16, v29, v32
	v_add_f16_e32 v0, v0, v23
	v_add_f16_e32 v1, v1, v22
	;; [unrolled: 1-line block ×4, first 2 shown]
	v_fma_f16 v17, v16, s13, v13
	v_fma_f16 v13, v16, s14, v13
	v_add_f16_e32 v16, v33, v35
	v_fma_f16 v16, v16, -0.5, v5
	v_lshrrev_b32_e32 v18, 16, v5
	v_sub_f16_e32 v19, v34, v36
	v_add_f16_e32 v21, v34, v36
	v_pack_b32_f16 v0, v0, v1
	v_pack_b32_f16 v1, v3, v9
	v_add_f16_e32 v3, v37, v40
	v_fma_f16 v20, v19, s14, v16
	v_fma_f16 v16, v19, s13, v16
	v_add_f16_e32 v19, v18, v34
	v_fma_f16 v18, v21, -0.5, v18
	v_sub_f16_e32 v21, v33, v35
	s_waitcnt lgkmcnt(8)
	v_fma_f16 v3, v3, -0.5, v6
	ds_write2_b32 v135, v0, v1 offset0:28 offset1:163
	v_sub_f16_e32 v0, v38, v39
	v_fma_f16 v22, v21, s13, v18
	v_fma_f16 v18, v21, s14, v18
	;; [unrolled: 1-line block ×4, first 2 shown]
	v_lshrrev_b32_e32 v3, 16, v6
	v_add_f16_e32 v21, v38, v39
	v_add_f16_e32 v9, v3, v38
	v_fma_f16 v3, v21, -0.5, v3
	v_sub_f16_e32 v21, v37, v40
	v_add_f16_e32 v4, v4, v29
	v_add_f16_e32 v5, v5, v33
	v_fma_f16 v23, v21, s13, v3
	v_fma_f16 v3, v21, s14, v3
	v_add_f16_e32 v21, v41, v43
	v_add_f16_e32 v15, v15, v31
	;; [unrolled: 1-line block ×5, first 2 shown]
	v_fma_f16 v21, v21, -0.5, v7
	v_lshrrev_b32_e32 v25, 16, v7
	v_sub_f16_e32 v26, v42, v44
	v_pack_b32_f16 v2, v2, v8
	v_add_f16_e32 v6, v6, v37
	v_add_f16_e32 v7, v7, v41
	v_fma_f16 v27, v26, s14, v21
	v_fma_f16 v21, v26, s13, v21
	v_add_f16_e32 v26, v25, v42
	v_add_f16_e32 v28, v42, v44
	v_pack_b32_f16 v10, v10, v12
	ds_write_b32 v149, v2 offset:13500
	v_pack_b32_f16 v2, v4, v15
	v_pack_b32_f16 v4, v14, v17
	;; [unrolled: 1-line block ×3, first 2 shown]
	v_add_f16_e32 v9, v9, v39
	v_add_f16_e32 v6, v6, v40
	;; [unrolled: 1-line block ×3, first 2 shown]
	v_fma_f16 v25, v28, -0.5, v25
	v_add_f16_e32 v7, v7, v43
	v_sub_f16_e32 v28, v41, v43
	ds_write2_b32 v198, v10, v4 offset0:105 offset1:240
	v_pack_b32_f16 v4, v11, v13
	ds_write2_b32 v154, v2, v5 offset0:42 offset1:177
	v_pack_b32_f16 v2, v20, v22
	v_pack_b32_f16 v5, v16, v18
	;; [unrolled: 1-line block ×3, first 2 shown]
	v_fma_f16 v29, v28, s13, v25
	ds_write2_b32 v143, v4, v5 offset0:54 offset1:189
	v_pack_b32_f16 v4, v6, v9
	ds_write2_b32 v199, v2, v1 offset0:119 offset1:254
	v_pack_b32_f16 v1, v7, v26
	v_fma_f16 v25, v28, s14, v25
	ds_write2_b32 v153, v4, v1 offset0:56 offset1:191
	v_pack_b32_f16 v1, v27, v29
	v_pack_b32_f16 v0, v0, v3
	ds_write_b32 v149, v1 offset:10260
	v_pack_b32_f16 v1, v21, v25
	ds_write2_b32 v124, v0, v1 offset0:68 offset1:203
	s_waitcnt lgkmcnt(0)
	s_barrier
	ds_read2_b32 v[5:6], v149 offset1:135
	v_mad_u64_u32 v[2:3], s[0:1], s10, v24, 0
	v_mov_b32_e32 v15, 0x7c00
	s_movk_i32 s10, 0x40f
	s_waitcnt lgkmcnt(0)
	v_lshrrev_b32_e32 v7, 16, v5
	v_mul_f16_sdwa v0, v147, v7 dst_sel:DWORD dst_unused:UNUSED_PAD src0_sel:WORD_1 src1_sel:DWORD
	v_fma_f16 v0, v147, v5, v0
	v_cvt_f32_f16_e32 v0, v0
	v_mad_u64_u32 v[3:4], s[0:1], s11, v24, v[3:4]
	v_mul_f16_sdwa v5, v147, v5 dst_sel:DWORD dst_unused:UNUSED_PAD src0_sel:WORD_1 src1_sel:DWORD
	v_cvt_f64_f32_e32 v[0:1], v0
	v_fma_f16 v5, v147, v7, -v5
	v_cvt_f32_f16_e32 v5, v5
	s_mov_b32 s11, 0x8000
	v_mul_f64 v[0:1], v[0:1], s[2:3]
	v_lshlrev_b64 v[2:3], 2, v[2:3]
	v_and_or_b32 v0, v1, s6, v0
	v_cmp_ne_u32_e32 vcc, 0, v0
	v_cndmask_b32_e64 v0, 0, 1, vcc
	v_lshrrev_b32_e32 v4, 8, v1
	v_bfe_u32 v8, v1, 20, 11
	v_and_or_b32 v0, v4, s7, v0
	v_sub_u32_e32 v9, 0x3f1, v8
	v_or_b32_e32 v4, 0x1000, v0
	v_med3_i32 v9, v9, 0, 13
	v_lshrrev_b32_e32 v10, v9, v4
	v_lshlrev_b32_e32 v9, v9, v10
	v_cmp_ne_u32_e32 vcc, v9, v4
	v_cndmask_b32_e64 v4, 0, 1, vcc
	v_add_u32_e32 v8, 0xfffffc10, v8
	v_or_b32_e32 v4, v10, v4
	v_lshl_or_b32 v9, v8, 12, v0
	v_cmp_gt_i32_e32 vcc, 1, v8
	v_cndmask_b32_e32 v4, v9, v4, vcc
	v_and_b32_e32 v9, 7, v4
	v_cmp_lt_i32_e32 vcc, 5, v9
	v_cmp_eq_u32_e64 s[0:1], 3, v9
	v_lshrrev_b32_e32 v4, 2, v4
	s_or_b64 vcc, s[0:1], vcc
	v_addc_co_u32_e32 v7, vcc, 0, v4, vcc
	v_cvt_f64_f32_e32 v[4:5], v5
	v_cmp_gt_i32_e32 vcc, 31, v8
	v_cndmask_b32_e32 v7, v15, v7, vcc
	v_cmp_ne_u32_e32 vcc, 0, v0
	v_mul_f64 v[4:5], v[4:5], s[2:3]
	v_cndmask_b32_e64 v0, 0, 1, vcc
	v_lshl_or_b32 v0, v0, 9, v15
	v_cmp_eq_u32_e32 vcc, s10, v8
	v_cndmask_b32_e32 v0, v7, v0, vcc
	v_lshrrev_b32_e32 v1, 16, v1
	v_and_or_b32 v9, v1, s11, v0
	v_and_b32_e32 v9, 0xffff, v9
	v_and_or_b32 v0, v5, s6, v4
	v_cmp_ne_u32_e32 vcc, 0, v0
	v_cndmask_b32_e64 v0, 0, 1, vcc
	v_lshrrev_b32_e32 v1, 8, v5
	v_bfe_u32 v4, v5, 20, 11
	v_and_or_b32 v0, v1, s7, v0
	v_sub_u32_e32 v7, 0x3f1, v4
	v_or_b32_e32 v1, 0x1000, v0
	v_med3_i32 v7, v7, 0, 13
	v_lshrrev_b32_e32 v8, v7, v1
	v_lshlrev_b32_e32 v7, v7, v8
	v_cmp_ne_u32_e32 vcc, v7, v1
	v_cndmask_b32_e64 v1, 0, 1, vcc
	v_add_u32_e32 v4, 0xfffffc10, v4
	v_or_b32_e32 v1, v8, v1
	v_lshl_or_b32 v7, v4, 12, v0
	v_cmp_gt_i32_e32 vcc, 1, v4
	v_cndmask_b32_e32 v1, v7, v1, vcc
	v_and_b32_e32 v7, 7, v1
	v_cmp_lt_i32_e32 vcc, 5, v7
	v_cmp_eq_u32_e64 s[0:1], 3, v7
	v_lshrrev_b32_e32 v1, 2, v1
	s_or_b64 vcc, s[0:1], vcc
	v_addc_co_u32_e32 v1, vcc, 0, v1, vcc
	v_cmp_gt_i32_e32 vcc, 31, v4
	v_cndmask_b32_e32 v1, v15, v1, vcc
	v_cmp_ne_u32_e32 vcc, 0, v0
	v_cndmask_b32_e64 v0, 0, 1, vcc
	v_lshl_or_b32 v0, v0, 9, v15
	v_cmp_eq_u32_e32 vcc, s10, v4
	v_mad_u64_u32 v[7:8], s[0:1], s8, v145, 0
	v_cndmask_b32_e32 v10, v1, v0, vcc
	ds_read2_b32 v[0:1], v155 offset0:14 offset1:149
	v_mov_b32_e32 v4, v8
	v_lshrrev_b32_e32 v11, 16, v5
	v_mad_u64_u32 v[4:5], s[0:1], s9, v145, v[4:5]
	s_waitcnt lgkmcnt(0)
	v_lshrrev_b32_e32 v12, 16, v1
	v_mul_f16_sdwa v5, v144, v12 dst_sel:DWORD dst_unused:UNUSED_PAD src0_sel:WORD_1 src1_sel:DWORD
	v_fma_f16 v5, v144, v1, v5
	v_cvt_f32_f16_e32 v5, v5
	v_mov_b32_e32 v8, v4
	v_and_or_b32 v10, v11, s11, v10
	v_lshl_or_b32 v9, v10, 16, v9
	v_cvt_f64_f32_e32 v[4:5], v5
	v_mov_b32_e32 v10, s5
	v_add_co_u32_e32 v11, vcc, s4, v2
	v_mul_f64 v[4:5], v[4:5], s[2:3]
	v_addc_co_u32_e32 v10, vcc, v10, v3, vcc
	v_lshlrev_b64 v[2:3], 2, v[7:8]
	v_mul_f16_sdwa v1, v144, v1 dst_sel:DWORD dst_unused:UNUSED_PAD src0_sel:WORD_1 src1_sel:DWORD
	v_add_co_u32_e32 v2, vcc, v11, v2
	v_addc_co_u32_e32 v3, vcc, v10, v3, vcc
	v_and_or_b32 v4, v5, s6, v4
	v_cmp_ne_u32_e32 vcc, 0, v4
	v_cndmask_b32_e64 v4, 0, 1, vcc
	v_lshrrev_b32_e32 v7, 8, v5
	v_bfe_u32 v8, v5, 20, 11
	global_store_dword v[2:3], v9, off
	v_and_or_b32 v4, v7, s7, v4
	v_sub_u32_e32 v9, 0x3f1, v8
	v_or_b32_e32 v7, 0x1000, v4
	v_med3_i32 v9, v9, 0, 13
	v_lshrrev_b32_e32 v10, v9, v7
	v_lshlrev_b32_e32 v9, v9, v10
	v_cmp_ne_u32_e32 vcc, v9, v7
	v_cndmask_b32_e64 v7, 0, 1, vcc
	v_fma_f16 v1, v144, v12, -v1
	v_or_b32_e32 v7, v10, v7
	v_add_u32_e32 v10, 0xfffffc10, v8
	v_cvt_f32_f16_e32 v1, v1
	v_lshl_or_b32 v8, v10, 12, v4
	v_cmp_gt_i32_e32 vcc, 1, v10
	v_cndmask_b32_e32 v7, v8, v7, vcc
	v_and_b32_e32 v8, 7, v7
	v_cmp_lt_i32_e32 vcc, 5, v8
	v_cmp_eq_u32_e64 s[0:1], 3, v8
	v_lshrrev_b32_e32 v9, 2, v7
	v_cvt_f64_f32_e32 v[7:8], v1
	s_or_b64 vcc, s[0:1], vcc
	v_addc_co_u32_e32 v1, vcc, 0, v9, vcc
	v_mul_f64 v[8:9], v[7:8], s[2:3]
	v_cmp_gt_i32_e32 vcc, 31, v10
	v_cndmask_b32_e32 v1, v15, v1, vcc
	v_cmp_ne_u32_e32 vcc, 0, v4
	v_cndmask_b32_e64 v4, 0, 1, vcc
	v_lshl_or_b32 v4, v4, 9, v15
	v_cmp_eq_u32_e32 vcc, s10, v10
	v_cndmask_b32_e32 v1, v1, v4, vcc
	v_lshrrev_b32_e32 v4, 16, v5
	v_and_or_b32 v1, v4, s11, v1
	v_and_or_b32 v4, v9, s6, v8
	v_cmp_ne_u32_e32 vcc, 0, v4
	v_cndmask_b32_e64 v4, 0, 1, vcc
	v_lshrrev_b32_e32 v5, 8, v9
	v_bfe_u32 v7, v9, 20, 11
	v_and_or_b32 v4, v5, s7, v4
	v_sub_u32_e32 v8, 0x3f1, v7
	v_or_b32_e32 v5, 0x1000, v4
	v_med3_i32 v8, v8, 0, 13
	v_lshrrev_b32_e32 v10, v8, v5
	v_lshlrev_b32_e32 v8, v8, v10
	v_cmp_ne_u32_e32 vcc, v8, v5
	v_cndmask_b32_e64 v5, 0, 1, vcc
	v_or_b32_e32 v5, v10, v5
	v_add_u32_e32 v10, 0xfffffc10, v7
	v_lshl_or_b32 v7, v10, 12, v4
	v_cmp_gt_i32_e32 vcc, 1, v10
	v_cndmask_b32_e32 v5, v7, v5, vcc
	v_and_b32_e32 v7, 7, v5
	v_cmp_lt_i32_e32 vcc, 5, v7
	v_cmp_eq_u32_e64 s[0:1], 3, v7
	v_lshrrev_b32_e32 v5, 2, v5
	s_or_b64 vcc, s[0:1], vcc
	ds_read2_b32 v[7:8], v154 offset0:42 offset1:177
	v_addc_co_u32_e32 v5, vcc, 0, v5, vcc
	v_cmp_gt_i32_e32 vcc, 31, v10
	v_cndmask_b32_e32 v5, v15, v5, vcc
	v_cmp_ne_u32_e32 vcc, 0, v4
	v_cndmask_b32_e64 v4, 0, 1, vcc
	v_lshl_or_b32 v4, v4, 9, v15
	v_cmp_eq_u32_e32 vcc, s10, v10
	s_waitcnt lgkmcnt(0)
	v_lshrrev_b32_e32 v11, 16, v7
	v_cndmask_b32_e32 v4, v5, v4, vcc
	v_lshrrev_b32_e32 v5, 16, v9
	v_mul_f16_sdwa v9, v142, v11 dst_sel:DWORD dst_unused:UNUSED_PAD src0_sel:WORD_1 src1_sel:DWORD
	v_fma_f16 v9, v142, v7, v9
	v_cvt_f32_f16_e32 v9, v9
	v_and_or_b32 v4, v5, s11, v4
	v_and_b32_e32 v1, 0xffff, v1
	v_lshl_or_b32 v1, v4, 16, v1
	v_cvt_f64_f32_e32 v[4:5], v9
	s_mul_i32 s0, s9, 0x654
	s_mul_hi_u32 s4, s8, 0x654
	s_add_i32 s4, s4, s0
	v_mul_f64 v[4:5], v[4:5], s[2:3]
	s_mul_i32 s5, s8, 0x654
	v_mov_b32_e32 v10, s4
	v_add_co_u32_e32 v9, vcc, s5, v2
	v_addc_co_u32_e32 v10, vcc, v3, v10, vcc
	global_store_dword v[9:10], v1, off
	v_and_or_b32 v1, v5, s6, v4
	v_cmp_ne_u32_e32 vcc, 0, v1
	v_cndmask_b32_e64 v1, 0, 1, vcc
	v_lshrrev_b32_e32 v2, 8, v5
	v_and_or_b32 v4, v2, s7, v1
	v_bfe_u32 v2, v5, 20, 11
	v_sub_u32_e32 v3, 0x3f1, v2
	v_or_b32_e32 v1, 0x1000, v4
	v_med3_i32 v3, v3, 0, 13
	v_lshrrev_b32_e32 v12, v3, v1
	v_lshlrev_b32_e32 v3, v3, v12
	v_cmp_ne_u32_e32 vcc, v3, v1
	v_mul_f16_sdwa v3, v142, v7 dst_sel:DWORD dst_unused:UNUSED_PAD src0_sel:WORD_1 src1_sel:DWORD
	v_cndmask_b32_e64 v1, 0, 1, vcc
	v_fma_f16 v3, v142, v11, -v3
	v_or_b32_e32 v1, v12, v1
	v_add_u32_e32 v12, 0xfffffc10, v2
	v_cvt_f32_f16_e32 v3, v3
	v_lshl_or_b32 v2, v12, 12, v4
	v_cmp_gt_i32_e32 vcc, 1, v12
	v_cndmask_b32_e32 v1, v2, v1, vcc
	v_and_b32_e32 v2, 7, v1
	v_cmp_lt_i32_e32 vcc, 5, v2
	v_cmp_eq_u32_e64 s[0:1], 3, v2
	v_lshrrev_b32_e32 v7, 2, v1
	v_cvt_f64_f32_e32 v[1:2], v3
	s_or_b64 vcc, s[0:1], vcc
	v_addc_co_u32_e32 v3, vcc, 0, v7, vcc
	v_cmp_gt_i32_e32 vcc, 31, v12
	v_cndmask_b32_e32 v7, v15, v3, vcc
	v_mul_f64 v[2:3], v[1:2], s[2:3]
	v_cmp_ne_u32_e32 vcc, 0, v4
	v_cndmask_b32_e64 v1, 0, 1, vcc
	v_lshl_or_b32 v1, v1, 9, v15
	v_cmp_eq_u32_e32 vcc, s10, v12
	v_cndmask_b32_e32 v1, v7, v1, vcc
	v_lshrrev_b32_e32 v4, 16, v5
	v_and_or_b32 v7, v4, s11, v1
	v_and_or_b32 v1, v3, s6, v2
	v_cmp_ne_u32_e32 vcc, 0, v1
	v_cndmask_b32_e64 v1, 0, 1, vcc
	v_lshrrev_b32_e32 v2, 8, v3
	v_and_or_b32 v4, v2, s7, v1
	v_bfe_u32 v2, v3, 20, 11
	v_sub_u32_e32 v5, 0x3f1, v2
	v_or_b32_e32 v1, 0x1000, v4
	v_med3_i32 v5, v5, 0, 13
	v_lshrrev_b32_e32 v11, v5, v1
	v_lshlrev_b32_e32 v5, v5, v11
	v_cmp_ne_u32_e32 vcc, v5, v1
	v_cndmask_b32_e64 v1, 0, 1, vcc
	v_add_u32_e32 v5, 0xfffffc10, v2
	v_or_b32_e32 v1, v11, v1
	v_lshl_or_b32 v2, v5, 12, v4
	v_cmp_gt_i32_e32 vcc, 1, v5
	v_cndmask_b32_e32 v1, v2, v1, vcc
	v_and_b32_e32 v2, 7, v1
	v_cmp_lt_i32_e32 vcc, 5, v2
	v_cmp_eq_u32_e64 s[0:1], 3, v2
	v_lshrrev_b32_e32 v1, 2, v1
	s_or_b64 vcc, s[0:1], vcc
	v_addc_co_u32_e32 v11, vcc, 0, v1, vcc
	ds_read2_b32 v[1:2], v153 offset0:56 offset1:191
	v_cmp_gt_i32_e32 vcc, 31, v5
	v_cndmask_b32_e32 v11, v15, v11, vcc
	v_cmp_ne_u32_e32 vcc, 0, v4
	v_cndmask_b32_e64 v4, 0, 1, vcc
	s_waitcnt lgkmcnt(0)
	v_lshrrev_b32_e32 v13, 16, v2
	v_mul_f16_sdwa v12, v140, v13 dst_sel:DWORD dst_unused:UNUSED_PAD src0_sel:WORD_1 src1_sel:DWORD
	v_fma_f16 v12, v140, v2, v12
	v_cvt_f32_f16_e32 v12, v12
	v_lshl_or_b32 v4, v4, 9, v15
	v_cmp_eq_u32_e32 vcc, s10, v5
	v_cndmask_b32_e32 v11, v11, v4, vcc
	v_cvt_f64_f32_e32 v[4:5], v12
	v_lshrrev_b32_e32 v3, 16, v3
	v_and_or_b32 v11, v3, s11, v11
	v_and_b32_e32 v7, 0xffff, v7
	v_mul_f64 v[3:4], v[4:5], s[2:3]
	v_lshl_or_b32 v5, v11, 16, v7
	v_mov_b32_e32 v7, s4
	v_add_co_u32_e32 v11, vcc, s5, v9
	v_addc_co_u32_e32 v12, vcc, v10, v7, vcc
	global_store_dword v[11:12], v5, off
	v_and_or_b32 v3, v4, s6, v3
	v_cmp_ne_u32_e32 vcc, 0, v3
	v_cndmask_b32_e64 v3, 0, 1, vcc
	v_lshrrev_b32_e32 v5, 8, v4
	v_bfe_u32 v7, v4, 20, 11
	v_and_or_b32 v5, v5, s7, v3
	v_sub_u32_e32 v9, 0x3f1, v7
	v_or_b32_e32 v3, 0x1000, v5
	v_med3_i32 v9, v9, 0, 13
	v_lshrrev_b32_e32 v10, v9, v3
	v_lshlrev_b32_e32 v9, v9, v10
	v_mul_f16_sdwa v2, v140, v2 dst_sel:DWORD dst_unused:UNUSED_PAD src0_sel:WORD_1 src1_sel:DWORD
	v_cmp_ne_u32_e32 vcc, v9, v3
	v_fma_f16 v2, v140, v13, -v2
	v_cndmask_b32_e64 v3, 0, 1, vcc
	v_add_u32_e32 v7, 0xfffffc10, v7
	v_cvt_f32_f16_e32 v2, v2
	v_or_b32_e32 v3, v10, v3
	v_lshl_or_b32 v9, v7, 12, v5
	v_cmp_gt_i32_e32 vcc, 1, v7
	v_cndmask_b32_e32 v3, v9, v3, vcc
	v_and_b32_e32 v9, 7, v3
	v_cmp_lt_i32_e32 vcc, 5, v9
	v_cmp_eq_u32_e64 s[0:1], 3, v9
	v_lshrrev_b32_e32 v9, 2, v3
	v_cvt_f64_f32_e32 v[2:3], v2
	s_or_b64 vcc, s[0:1], vcc
	v_addc_co_u32_e32 v9, vcc, 0, v9, vcc
	v_mul_f64 v[2:3], v[2:3], s[2:3]
	v_cmp_gt_i32_e32 vcc, 31, v7
	v_cndmask_b32_e32 v9, v15, v9, vcc
	v_cmp_ne_u32_e32 vcc, 0, v5
	v_cndmask_b32_e64 v5, 0, 1, vcc
	v_lshl_or_b32 v5, v5, 9, v15
	v_cmp_eq_u32_e32 vcc, s10, v7
	v_cndmask_b32_e32 v5, v9, v5, vcc
	v_and_or_b32 v2, v3, s6, v2
	v_lshrrev_b32_e32 v4, 16, v4
	v_cmp_ne_u32_e32 vcc, 0, v2
	v_and_or_b32 v7, v4, s11, v5
	v_cndmask_b32_e64 v2, 0, 1, vcc
	v_lshrrev_b32_e32 v4, 8, v3
	v_bfe_u32 v5, v3, 20, 11
	v_and_or_b32 v2, v4, s7, v2
	v_sub_u32_e32 v9, 0x3f1, v5
	v_or_b32_e32 v4, 0x1000, v2
	v_med3_i32 v9, v9, 0, 13
	v_lshrrev_b32_e32 v10, v9, v4
	v_lshlrev_b32_e32 v9, v9, v10
	v_cmp_ne_u32_e32 vcc, v9, v4
	v_cndmask_b32_e64 v4, 0, 1, vcc
	v_add_u32_e32 v5, 0xfffffc10, v5
	v_or_b32_e32 v4, v10, v4
	v_lshl_or_b32 v9, v5, 12, v2
	v_cmp_gt_i32_e32 vcc, 1, v5
	v_cndmask_b32_e32 v4, v9, v4, vcc
	v_and_b32_e32 v9, 7, v4
	v_cmp_lt_i32_e32 vcc, 5, v9
	v_cmp_eq_u32_e64 s[0:1], 3, v9
	ds_read2_b32 v[9:10], v152 offset0:84 offset1:219
	v_lshrrev_b32_e32 v4, 2, v4
	s_or_b64 vcc, s[0:1], vcc
	v_addc_co_u32_e32 v4, vcc, 0, v4, vcc
	s_waitcnt lgkmcnt(0)
	v_lshrrev_b32_e32 v13, 16, v9
	v_mul_f16_sdwa v14, v137, v13 dst_sel:DWORD dst_unused:UNUSED_PAD src0_sel:WORD_1 src1_sel:DWORD
	v_fma_f16 v14, v137, v9, v14
	v_cmp_gt_i32_e32 vcc, 31, v5
	v_cvt_f32_f16_e32 v14, v14
	v_cndmask_b32_e32 v4, v15, v4, vcc
	v_cmp_ne_u32_e32 vcc, 0, v2
	v_cndmask_b32_e64 v2, 0, 1, vcc
	v_lshl_or_b32 v2, v2, 9, v15
	v_cmp_eq_u32_e32 vcc, s10, v5
	v_cndmask_b32_e32 v2, v4, v2, vcc
	v_cvt_f64_f32_e32 v[4:5], v14
	v_lshrrev_b32_e32 v3, 16, v3
	v_and_or_b32 v14, v3, s11, v2
	v_and_b32_e32 v7, 0xffff, v7
	v_mul_f64 v[2:3], v[4:5], s[2:3]
	v_mov_b32_e32 v5, s4
	v_add_co_u32_e32 v4, vcc, s5, v11
	v_addc_co_u32_e32 v5, vcc, v12, v5, vcc
	v_lshl_or_b32 v7, v14, 16, v7
	global_store_dword v[4:5], v7, off
	v_and_or_b32 v2, v3, s6, v2
	v_cmp_ne_u32_e32 vcc, 0, v2
	v_cndmask_b32_e64 v2, 0, 1, vcc
	v_lshrrev_b32_e32 v7, 8, v3
	v_bfe_u32 v11, v3, 20, 11
	v_and_or_b32 v2, v7, s7, v2
	v_sub_u32_e32 v12, 0x3f1, v11
	v_or_b32_e32 v7, 0x1000, v2
	v_med3_i32 v12, v12, 0, 13
	v_lshrrev_b32_e32 v14, v12, v7
	v_lshlrev_b32_e32 v12, v12, v14
	v_cmp_ne_u32_e32 vcc, v12, v7
	v_mul_f16_sdwa v9, v137, v9 dst_sel:DWORD dst_unused:UNUSED_PAD src0_sel:WORD_1 src1_sel:DWORD
	v_cndmask_b32_e64 v7, 0, 1, vcc
	v_fma_f16 v9, v137, v13, -v9
	v_or_b32_e32 v7, v14, v7
	v_add_u32_e32 v14, 0xfffffc10, v11
	v_cvt_f32_f16_e32 v9, v9
	v_lshl_or_b32 v11, v14, 12, v2
	v_cmp_gt_i32_e32 vcc, 1, v14
	v_cndmask_b32_e32 v7, v11, v7, vcc
	v_and_b32_e32 v11, 7, v7
	v_cmp_lt_i32_e32 vcc, 5, v11
	v_cmp_eq_u32_e64 s[0:1], 3, v11
	v_cvt_f64_f32_e32 v[11:12], v9
	v_lshrrev_b32_e32 v7, 2, v7
	s_or_b64 vcc, s[0:1], vcc
	v_addc_co_u32_e32 v7, vcc, 0, v7, vcc
	v_mul_f64 v[11:12], v[11:12], s[2:3]
	v_cmp_gt_i32_e32 vcc, 31, v14
	v_cndmask_b32_e32 v7, v15, v7, vcc
	v_cmp_ne_u32_e32 vcc, 0, v2
	v_cndmask_b32_e64 v2, 0, 1, vcc
	v_lshl_or_b32 v2, v2, 9, v15
	v_cmp_eq_u32_e32 vcc, s10, v14
	v_cndmask_b32_e32 v2, v7, v2, vcc
	v_lshrrev_b32_e32 v3, 16, v3
	v_and_or_b32 v7, v3, s11, v2
	v_and_or_b32 v2, v12, s6, v11
	v_cmp_ne_u32_e32 vcc, 0, v2
	v_cndmask_b32_e64 v2, 0, 1, vcc
	v_lshrrev_b32_e32 v3, 8, v12
	v_and_or_b32 v9, v3, s7, v2
	v_bfe_u32 v3, v12, 20, 11
	v_sub_u32_e32 v11, 0x3f1, v3
	v_or_b32_e32 v2, 0x1000, v9
	v_med3_i32 v11, v11, 0, 13
	v_lshrrev_b32_e32 v13, v11, v2
	v_lshlrev_b32_e32 v11, v11, v13
	v_cmp_ne_u32_e32 vcc, v11, v2
	v_cndmask_b32_e64 v2, 0, 1, vcc
	v_add_u32_e32 v11, 0xfffffc10, v3
	v_or_b32_e32 v2, v13, v2
	v_lshl_or_b32 v3, v11, 12, v9
	v_cmp_gt_i32_e32 vcc, 1, v11
	v_cndmask_b32_e32 v2, v3, v2, vcc
	v_and_b32_e32 v3, 7, v2
	v_cmp_lt_i32_e32 vcc, 5, v3
	v_cmp_eq_u32_e64 s[0:1], 3, v3
	v_lshrrev_b32_e32 v2, 2, v2
	s_or_b64 vcc, s[0:1], vcc
	v_addc_co_u32_e32 v13, vcc, 0, v2, vcc
	ds_read2_b32 v[2:3], v151 offset0:98 offset1:233
	v_cmp_gt_i32_e32 vcc, 31, v11
	v_cndmask_b32_e32 v13, v15, v13, vcc
	v_cmp_ne_u32_e32 vcc, 0, v9
	v_cndmask_b32_e64 v9, 0, 1, vcc
	s_waitcnt lgkmcnt(0)
	v_lshrrev_b32_e32 v16, 16, v3
	v_mul_f16_sdwa v14, v141, v16 dst_sel:DWORD dst_unused:UNUSED_PAD src0_sel:WORD_1 src1_sel:DWORD
	v_fma_f16 v14, v141, v3, v14
	v_cvt_f32_f16_e32 v14, v14
	v_lshl_or_b32 v9, v9, 9, v15
	v_cmp_eq_u32_e32 vcc, s10, v11
	v_cndmask_b32_e32 v9, v13, v9, vcc
	v_cvt_f64_f32_e32 v[13:14], v14
	v_lshrrev_b32_e32 v11, 16, v12
	v_and_or_b32 v9, v11, s11, v9
	v_and_b32_e32 v7, 0xffff, v7
	v_mul_f64 v[11:12], v[13:14], s[2:3]
	v_lshl_or_b32 v7, v9, 16, v7
	v_mov_b32_e32 v9, s4
	v_add_co_u32_e32 v4, vcc, s5, v4
	v_addc_co_u32_e32 v5, vcc, v5, v9, vcc
	global_store_dword v[4:5], v7, off
	v_and_or_b32 v7, v12, s6, v11
	v_cmp_ne_u32_e32 vcc, 0, v7
	v_cndmask_b32_e64 v7, 0, 1, vcc
	v_lshrrev_b32_e32 v9, 8, v12
	v_bfe_u32 v11, v12, 20, 11
	v_and_or_b32 v7, v9, s7, v7
	v_sub_u32_e32 v13, 0x3f1, v11
	v_or_b32_e32 v9, 0x1000, v7
	v_med3_i32 v13, v13, 0, 13
	v_lshrrev_b32_e32 v14, v13, v9
	v_lshlrev_b32_e32 v13, v13, v14
	v_mul_f16_sdwa v3, v141, v3 dst_sel:DWORD dst_unused:UNUSED_PAD src0_sel:WORD_1 src1_sel:DWORD
	v_cmp_ne_u32_e32 vcc, v13, v9
	v_fma_f16 v3, v141, v16, -v3
	v_cndmask_b32_e64 v9, 0, 1, vcc
	v_add_u32_e32 v11, 0xfffffc10, v11
	v_cvt_f32_f16_e32 v3, v3
	v_or_b32_e32 v9, v14, v9
	v_lshl_or_b32 v13, v11, 12, v7
	v_cmp_gt_i32_e32 vcc, 1, v11
	v_cndmask_b32_e32 v9, v13, v9, vcc
	v_and_b32_e32 v13, 7, v9
	v_cmp_lt_i32_e32 vcc, 5, v13
	v_cmp_eq_u32_e64 s[0:1], 3, v13
	v_cvt_f64_f32_e32 v[13:14], v3
	v_lshrrev_b32_e32 v9, 2, v9
	s_or_b64 vcc, s[0:1], vcc
	v_addc_co_u32_e32 v3, vcc, 0, v9, vcc
	v_mul_f64 v[13:14], v[13:14], s[2:3]
	v_cmp_gt_i32_e32 vcc, 31, v11
	v_cndmask_b32_e32 v3, v15, v3, vcc
	v_cmp_ne_u32_e32 vcc, 0, v7
	v_cndmask_b32_e64 v7, 0, 1, vcc
	v_lshl_or_b32 v7, v7, 9, v15
	v_cmp_eq_u32_e32 vcc, s10, v11
	v_cndmask_b32_e32 v3, v3, v7, vcc
	v_lshrrev_b32_e32 v7, 16, v12
	v_and_or_b32 v3, v7, s11, v3
	v_and_or_b32 v7, v14, s6, v13
	v_cmp_ne_u32_e32 vcc, 0, v7
	v_cndmask_b32_e64 v7, 0, 1, vcc
	v_lshrrev_b32_e32 v9, 8, v14
	v_bfe_u32 v11, v14, 20, 11
	v_and_or_b32 v7, v9, s7, v7
	v_sub_u32_e32 v12, 0x3f1, v11
	v_or_b32_e32 v9, 0x1000, v7
	v_med3_i32 v12, v12, 0, 13
	v_lshrrev_b32_e32 v13, v12, v9
	v_lshlrev_b32_e32 v12, v12, v13
	v_cmp_ne_u32_e32 vcc, v12, v9
	v_cndmask_b32_e64 v9, 0, 1, vcc
	v_or_b32_e32 v9, v13, v9
	v_add_u32_e32 v13, 0xfffffc10, v11
	v_lshl_or_b32 v11, v13, 12, v7
	v_cmp_gt_i32_e32 vcc, 1, v13
	v_cndmask_b32_e32 v9, v11, v9, vcc
	v_and_b32_e32 v11, 7, v9
	v_cmp_lt_i32_e32 vcc, 5, v11
	v_cmp_eq_u32_e64 s[0:1], 3, v11
	ds_read2_b32 v[11:12], v150 offset0:62 offset1:197
	v_lshrrev_b32_e32 v9, 2, v9
	s_or_b64 vcc, s[0:1], vcc
	v_addc_co_u32_e32 v9, vcc, 0, v9, vcc
	s_waitcnt lgkmcnt(0)
	v_lshrrev_b32_e32 v18, 16, v11
	v_mul_f16_sdwa v16, v139, v18 dst_sel:DWORD dst_unused:UNUSED_PAD src0_sel:WORD_1 src1_sel:DWORD
	v_fma_f16 v16, v139, v11, v16
	v_cvt_f32_f16_e32 v16, v16
	v_cmp_gt_i32_e32 vcc, 31, v13
	v_cndmask_b32_e32 v9, v15, v9, vcc
	v_cmp_ne_u32_e32 vcc, 0, v7
	v_cvt_f64_f32_e32 v[16:17], v16
	v_cndmask_b32_e64 v7, 0, 1, vcc
	v_lshl_or_b32 v7, v7, 9, v15
	v_cmp_eq_u32_e32 vcc, s10, v13
	v_cndmask_b32_e32 v7, v9, v7, vcc
	v_lshrrev_b32_e32 v9, 16, v14
	v_mul_f64 v[13:14], v[16:17], s[2:3]
	v_and_or_b32 v7, v9, s11, v7
	v_and_b32_e32 v3, 0xffff, v3
	v_lshl_or_b32 v3, v7, 16, v3
	v_mov_b32_e32 v7, s4
	v_add_co_u32_e32 v16, vcc, s5, v4
	v_addc_co_u32_e32 v17, vcc, v5, v7, vcc
	global_store_dword v[16:17], v3, off
	v_and_or_b32 v3, v14, s6, v13
	v_cmp_ne_u32_e32 vcc, 0, v3
	v_cndmask_b32_e64 v3, 0, 1, vcc
	v_lshrrev_b32_e32 v4, 8, v14
	v_and_or_b32 v7, v4, s7, v3
	v_bfe_u32 v4, v14, 20, 11
	v_sub_u32_e32 v5, 0x3f1, v4
	v_or_b32_e32 v3, 0x1000, v7
	v_med3_i32 v5, v5, 0, 13
	v_lshrrev_b32_e32 v9, v5, v3
	v_lshlrev_b32_e32 v5, v5, v9
	v_cmp_ne_u32_e32 vcc, v5, v3
	v_mul_f16_sdwa v5, v139, v11 dst_sel:DWORD dst_unused:UNUSED_PAD src0_sel:WORD_1 src1_sel:DWORD
	v_cndmask_b32_e64 v3, 0, 1, vcc
	v_fma_f16 v5, v139, v18, -v5
	v_or_b32_e32 v3, v9, v3
	v_add_u32_e32 v9, 0xfffffc10, v4
	v_cvt_f32_f16_e32 v5, v5
	v_lshl_or_b32 v4, v9, 12, v7
	v_cmp_gt_i32_e32 vcc, 1, v9
	v_cndmask_b32_e32 v3, v4, v3, vcc
	v_and_b32_e32 v4, 7, v3
	v_cmp_lt_i32_e32 vcc, 5, v4
	v_cmp_eq_u32_e64 s[0:1], 3, v4
	v_lshrrev_b32_e32 v11, 2, v3
	v_cvt_f64_f32_e32 v[3:4], v5
	s_or_b64 vcc, s[0:1], vcc
	v_addc_co_u32_e32 v5, vcc, 0, v11, vcc
	v_cmp_gt_i32_e32 vcc, 31, v9
	v_cndmask_b32_e32 v11, v15, v5, vcc
	v_mul_f64 v[4:5], v[3:4], s[2:3]
	v_cmp_ne_u32_e32 vcc, 0, v7
	v_cndmask_b32_e64 v3, 0, 1, vcc
	v_lshl_or_b32 v3, v3, 9, v15
	v_cmp_eq_u32_e32 vcc, s10, v9
	v_cndmask_b32_e32 v3, v11, v3, vcc
	v_lshrrev_b32_e32 v7, 16, v14
	v_and_or_b32 v7, v7, s11, v3
	v_and_or_b32 v3, v5, s6, v4
	v_cmp_ne_u32_e32 vcc, 0, v3
	v_cndmask_b32_e64 v3, 0, 1, vcc
	v_lshrrev_b32_e32 v4, 8, v5
	v_and_or_b32 v9, v4, s7, v3
	v_bfe_u32 v4, v5, 20, 11
	v_sub_u32_e32 v11, 0x3f1, v4
	v_or_b32_e32 v3, 0x1000, v9
	v_med3_i32 v11, v11, 0, 13
	v_lshrrev_b32_e32 v13, v11, v3
	v_lshlrev_b32_e32 v11, v11, v13
	v_cmp_ne_u32_e32 vcc, v11, v3
	v_cndmask_b32_e64 v3, 0, 1, vcc
	v_add_u32_e32 v11, 0xfffffc10, v4
	v_or_b32_e32 v3, v13, v3
	v_lshl_or_b32 v4, v11, 12, v9
	v_cmp_gt_i32_e32 vcc, 1, v11
	v_cndmask_b32_e32 v3, v4, v3, vcc
	v_and_b32_e32 v4, 7, v3
	v_cmp_lt_i32_e32 vcc, 5, v4
	v_cmp_eq_u32_e64 s[0:1], 3, v4
	v_lshrrev_b32_e32 v3, 2, v3
	s_or_b64 vcc, s[0:1], vcc
	v_addc_co_u32_e32 v13, vcc, 0, v3, vcc
	ds_read2_b32 v[3:4], v148 offset0:12 offset1:147
	v_cmp_gt_i32_e32 vcc, 31, v11
	v_cndmask_b32_e32 v13, v15, v13, vcc
	v_cmp_ne_u32_e32 vcc, 0, v9
	v_cndmask_b32_e64 v9, 0, 1, vcc
	s_waitcnt lgkmcnt(0)
	v_lshrrev_b32_e32 v18, 16, v4
	v_mul_f16_sdwa v14, v138, v18 dst_sel:DWORD dst_unused:UNUSED_PAD src0_sel:WORD_1 src1_sel:DWORD
	v_fma_f16 v14, v138, v4, v14
	v_cvt_f32_f16_e32 v14, v14
	v_lshl_or_b32 v9, v9, 9, v15
	v_cmp_eq_u32_e32 vcc, s10, v11
	v_cndmask_b32_e32 v9, v13, v9, vcc
	v_cvt_f64_f32_e32 v[13:14], v14
	v_lshrrev_b32_e32 v5, 16, v5
	v_and_or_b32 v5, v5, s11, v9
	v_and_b32_e32 v7, 0xffff, v7
	v_mul_f64 v[13:14], v[13:14], s[2:3]
	v_lshl_or_b32 v5, v5, 16, v7
	v_mov_b32_e32 v7, s4
	v_add_co_u32_e32 v16, vcc, s5, v16
	v_addc_co_u32_e32 v17, vcc, v17, v7, vcc
	global_store_dword v[16:17], v5, off
	v_and_or_b32 v5, v14, s6, v13
	v_cmp_ne_u32_e32 vcc, 0, v5
	v_cndmask_b32_e64 v5, 0, 1, vcc
	v_lshrrev_b32_e32 v7, 8, v14
	v_bfe_u32 v9, v14, 20, 11
	v_and_or_b32 v7, v7, s7, v5
	v_sub_u32_e32 v11, 0x3f1, v9
	v_or_b32_e32 v5, 0x1000, v7
	v_med3_i32 v11, v11, 0, 13
	v_lshrrev_b32_e32 v13, v11, v5
	v_lshlrev_b32_e32 v11, v11, v13
	v_mul_f16_sdwa v4, v138, v4 dst_sel:DWORD dst_unused:UNUSED_PAD src0_sel:WORD_1 src1_sel:DWORD
	v_cmp_ne_u32_e32 vcc, v11, v5
	v_fma_f16 v4, v138, v18, -v4
	v_cndmask_b32_e64 v5, 0, 1, vcc
	v_add_u32_e32 v9, 0xfffffc10, v9
	v_cvt_f32_f16_e32 v4, v4
	v_or_b32_e32 v5, v13, v5
	v_lshl_or_b32 v11, v9, 12, v7
	v_cmp_gt_i32_e32 vcc, 1, v9
	v_cndmask_b32_e32 v5, v11, v5, vcc
	v_and_b32_e32 v11, 7, v5
	v_cmp_lt_i32_e32 vcc, 5, v11
	v_cmp_eq_u32_e64 s[0:1], 3, v11
	v_lshrrev_b32_e32 v11, 2, v5
	v_cvt_f64_f32_e32 v[4:5], v4
	s_or_b64 vcc, s[0:1], vcc
	v_addc_co_u32_e32 v11, vcc, 0, v11, vcc
	v_mul_f64 v[4:5], v[4:5], s[2:3]
	v_cmp_gt_i32_e32 vcc, 31, v9
	v_cndmask_b32_e32 v11, v15, v11, vcc
	v_cmp_ne_u32_e32 vcc, 0, v7
	v_cndmask_b32_e64 v7, 0, 1, vcc
	v_lshl_or_b32 v7, v7, 9, v15
	v_cmp_eq_u32_e32 vcc, s10, v9
	v_cndmask_b32_e32 v7, v11, v7, vcc
	v_and_or_b32 v4, v5, s6, v4
	v_lshrrev_b32_e32 v9, 16, v14
	v_cmp_ne_u32_e32 vcc, 0, v4
	v_and_or_b32 v7, v9, s11, v7
	v_cndmask_b32_e64 v4, 0, 1, vcc
	v_lshrrev_b32_e32 v9, 8, v5
	v_bfe_u32 v11, v5, 20, 11
	v_and_or_b32 v4, v9, s7, v4
	v_sub_u32_e32 v13, 0x3f1, v11
	v_or_b32_e32 v9, 0x1000, v4
	v_med3_i32 v13, v13, 0, 13
	v_lshrrev_b32_e32 v14, v13, v9
	v_lshlrev_b32_e32 v13, v13, v14
	v_cmp_ne_u32_e32 vcc, v13, v9
	v_cndmask_b32_e64 v9, 0, 1, vcc
	v_add_u32_e32 v11, 0xfffffc10, v11
	v_or_b32_e32 v9, v14, v9
	v_lshl_or_b32 v13, v11, 12, v4
	v_cmp_gt_i32_e32 vcc, 1, v11
	v_cndmask_b32_e32 v9, v13, v9, vcc
	v_and_b32_e32 v13, 7, v9
	v_cmp_lt_i32_e32 vcc, 5, v13
	v_cmp_eq_u32_e64 s[0:1], 3, v13
	ds_read2_b32 v[13:14], v146 offset0:40 offset1:175
	v_lshrrev_b32_e32 v9, 2, v9
	s_or_b64 vcc, s[0:1], vcc
	v_addc_co_u32_e32 v9, vcc, 0, v9, vcc
	s_waitcnt lgkmcnt(0)
	v_lshrrev_b32_e32 v20, 16, v13
	v_mul_f16_sdwa v18, v136, v20 dst_sel:DWORD dst_unused:UNUSED_PAD src0_sel:WORD_1 src1_sel:DWORD
	v_fma_f16 v18, v136, v13, v18
	v_cvt_f32_f16_e32 v18, v18
	v_cmp_gt_i32_e32 vcc, 31, v11
	v_cndmask_b32_e32 v9, v15, v9, vcc
	v_cmp_ne_u32_e32 vcc, 0, v4
	v_cvt_f64_f32_e32 v[18:19], v18
	v_cndmask_b32_e64 v4, 0, 1, vcc
	v_lshl_or_b32 v4, v4, 9, v15
	v_cmp_eq_u32_e32 vcc, s10, v11
	v_cndmask_b32_e32 v4, v9, v4, vcc
	v_lshrrev_b32_e32 v5, 16, v5
	v_and_or_b32 v9, v5, s11, v4
	v_mul_f64 v[4:5], v[18:19], s[2:3]
	v_and_b32_e32 v7, 0xffff, v7
	v_lshl_or_b32 v7, v9, 16, v7
	v_mov_b32_e32 v9, s4
	v_add_co_u32_e32 v16, vcc, s5, v16
	v_addc_co_u32_e32 v17, vcc, v17, v9, vcc
	v_and_or_b32 v4, v5, s6, v4
	v_cmp_ne_u32_e32 vcc, 0, v4
	global_store_dword v[16:17], v7, off
	v_cndmask_b32_e64 v4, 0, 1, vcc
	v_lshrrev_b32_e32 v7, 8, v5
	v_bfe_u32 v9, v5, 20, 11
	v_and_or_b32 v4, v7, s7, v4
	v_sub_u32_e32 v11, 0x3f1, v9
	v_mul_f16_sdwa v13, v136, v13 dst_sel:DWORD dst_unused:UNUSED_PAD src0_sel:WORD_1 src1_sel:DWORD
	v_or_b32_e32 v7, 0x1000, v4
	v_med3_i32 v11, v11, 0, 13
	v_fma_f16 v13, v136, v20, -v13
	v_lshrrev_b32_e32 v18, v11, v7
	v_cvt_f32_f16_e32 v13, v13
	v_lshlrev_b32_e32 v11, v11, v18
	v_cmp_ne_u32_e32 vcc, v11, v7
	v_cndmask_b32_e64 v7, 0, 1, vcc
	v_or_b32_e32 v7, v18, v7
	v_add_u32_e32 v9, 0xfffffc10, v9
	v_cvt_f64_f32_e32 v[18:19], v13
	v_lshl_or_b32 v11, v9, 12, v4
	v_cmp_gt_i32_e32 vcc, 1, v9
	v_cndmask_b32_e32 v7, v11, v7, vcc
	v_and_b32_e32 v11, 7, v7
	v_cmp_lt_i32_e32 vcc, 5, v11
	v_cmp_eq_u32_e64 s[0:1], 3, v11
	v_mul_f64 v[18:19], v[18:19], s[2:3]
	v_lshrrev_b32_e32 v7, 2, v7
	s_or_b64 vcc, s[0:1], vcc
	v_addc_co_u32_e32 v7, vcc, 0, v7, vcc
	v_cmp_gt_i32_e32 vcc, 31, v9
	v_cndmask_b32_e32 v7, v15, v7, vcc
	v_cmp_ne_u32_e32 vcc, 0, v4
	v_cndmask_b32_e64 v4, 0, 1, vcc
	v_lshl_or_b32 v4, v4, 9, v15
	v_cmp_eq_u32_e32 vcc, s10, v9
	v_cndmask_b32_e32 v4, v7, v4, vcc
	v_lshrrev_b32_e32 v5, 16, v5
	v_and_or_b32 v7, v5, s11, v4
	v_and_or_b32 v4, v19, s6, v18
	v_cmp_ne_u32_e32 vcc, 0, v4
	v_cndmask_b32_e64 v4, 0, 1, vcc
	v_lshrrev_b32_e32 v5, 8, v19
	v_and_or_b32 v9, v5, s7, v4
	v_bfe_u32 v5, v19, 20, 11
	v_sub_u32_e32 v11, 0x3f1, v5
	v_or_b32_e32 v4, 0x1000, v9
	v_med3_i32 v11, v11, 0, 13
	v_lshrrev_b32_e32 v13, v11, v4
	v_lshlrev_b32_e32 v11, v11, v13
	v_cmp_ne_u32_e32 vcc, v11, v4
	v_cndmask_b32_e64 v4, 0, 1, vcc
	v_add_u32_e32 v11, 0xfffffc10, v5
	v_or_b32_e32 v4, v13, v4
	v_lshl_or_b32 v5, v11, 12, v9
	v_cmp_gt_i32_e32 vcc, 1, v11
	v_cndmask_b32_e32 v4, v5, v4, vcc
	v_and_b32_e32 v5, 7, v4
	v_cmp_lt_i32_e32 vcc, 5, v5
	v_cmp_eq_u32_e64 s[0:1], 3, v5
	v_lshrrev_b32_e32 v4, 2, v4
	s_or_b64 vcc, s[0:1], vcc
	v_addc_co_u32_e32 v13, vcc, 0, v4, vcc
	ds_read2_b32 v[4:5], v143 offset0:54 offset1:189
	v_cmp_gt_i32_e32 vcc, 31, v11
	v_cndmask_b32_e32 v13, v15, v13, vcc
	v_cmp_ne_u32_e32 vcc, 0, v9
	v_cndmask_b32_e64 v9, 0, 1, vcc
	s_waitcnt lgkmcnt(0)
	v_lshrrev_b32_e32 v22, 16, v5
	v_mul_f16_sdwa v18, v134, v22 dst_sel:DWORD dst_unused:UNUSED_PAD src0_sel:WORD_1 src1_sel:DWORD
	v_fma_f16 v18, v134, v5, v18
	v_cvt_f32_f16_e32 v18, v18
	v_cmp_eq_u32_e32 vcc, s10, v11
	v_lshrrev_b32_e32 v11, 16, v19
	v_lshl_or_b32 v9, v9, 9, v15
	v_cvt_f64_f32_e32 v[20:21], v18
	v_cndmask_b32_e32 v9, v13, v9, vcc
	v_and_or_b32 v9, v11, s11, v9
	v_and_b32_e32 v7, 0xffff, v7
	v_mul_f64 v[18:19], v[20:21], s[2:3]
	v_lshl_or_b32 v7, v9, 16, v7
	v_mov_b32_e32 v9, s4
	v_add_co_u32_e32 v16, vcc, s5, v16
	v_addc_co_u32_e32 v17, vcc, v17, v9, vcc
	global_store_dword v[16:17], v7, off
	v_and_or_b32 v7, v19, s6, v18
	v_cmp_ne_u32_e32 vcc, 0, v7
	v_cndmask_b32_e64 v7, 0, 1, vcc
	v_lshrrev_b32_e32 v9, 8, v19
	v_bfe_u32 v11, v19, 20, 11
	v_mul_f16_sdwa v5, v134, v5 dst_sel:DWORD dst_unused:UNUSED_PAD src0_sel:WORD_1 src1_sel:DWORD
	v_and_or_b32 v7, v9, s7, v7
	v_sub_u32_e32 v13, 0x3f1, v11
	v_fma_f16 v5, v134, v22, -v5
	v_or_b32_e32 v9, 0x1000, v7
	v_med3_i32 v13, v13, 0, 13
	v_cvt_f32_f16_e32 v5, v5
	v_lshrrev_b32_e32 v18, v13, v9
	v_lshlrev_b32_e32 v13, v13, v18
	v_cmp_ne_u32_e32 vcc, v13, v9
	v_cndmask_b32_e64 v9, 0, 1, vcc
	v_add_u32_e32 v11, 0xfffffc10, v11
	v_cvt_f64_f32_e32 v[20:21], v5
	v_or_b32_e32 v9, v18, v9
	v_lshl_or_b32 v13, v11, 12, v7
	v_cmp_gt_i32_e32 vcc, 1, v11
	v_cndmask_b32_e32 v9, v13, v9, vcc
	v_and_b32_e32 v13, 7, v9
	v_cmp_lt_i32_e32 vcc, 5, v13
	v_cmp_eq_u32_e64 s[0:1], 3, v13
	v_mul_f64 v[20:21], v[20:21], s[2:3]
	v_lshrrev_b32_e32 v9, 2, v9
	s_or_b64 vcc, s[0:1], vcc
	v_addc_co_u32_e32 v5, vcc, 0, v9, vcc
	v_cmp_gt_i32_e32 vcc, 31, v11
	v_cndmask_b32_e32 v5, v15, v5, vcc
	v_cmp_ne_u32_e32 vcc, 0, v7
	v_cndmask_b32_e64 v7, 0, 1, vcc
	v_lshl_or_b32 v7, v7, 9, v15
	v_cmp_eq_u32_e32 vcc, s10, v11
	v_cndmask_b32_e32 v5, v5, v7, vcc
	v_lshrrev_b32_e32 v7, 16, v19
	v_and_or_b32 v5, v7, s11, v5
	v_and_or_b32 v7, v21, s6, v20
	v_cmp_ne_u32_e32 vcc, 0, v7
	v_cndmask_b32_e64 v7, 0, 1, vcc
	v_lshrrev_b32_e32 v9, 8, v21
	v_bfe_u32 v11, v21, 20, 11
	v_and_or_b32 v7, v9, s7, v7
	v_sub_u32_e32 v13, 0x3f1, v11
	v_or_b32_e32 v9, 0x1000, v7
	v_med3_i32 v13, v13, 0, 13
	v_lshrrev_b32_e32 v18, v13, v9
	v_lshlrev_b32_e32 v13, v13, v18
	v_cmp_ne_u32_e32 vcc, v13, v9
	v_cndmask_b32_e64 v9, 0, 1, vcc
	v_add_u32_e32 v11, 0xfffffc10, v11
	v_or_b32_e32 v9, v18, v9
	v_lshl_or_b32 v13, v11, 12, v7
	v_cmp_gt_i32_e32 vcc, 1, v11
	v_cndmask_b32_e32 v9, v13, v9, vcc
	v_and_b32_e32 v13, 7, v9
	v_cmp_lt_i32_e32 vcc, 5, v13
	v_cmp_eq_u32_e64 s[0:1], 3, v13
	v_lshrrev_b32_e32 v13, 16, v6
	v_mul_f16_sdwa v18, v131, v13 dst_sel:DWORD dst_unused:UNUSED_PAD src0_sel:WORD_1 src1_sel:DWORD
	v_fma_f16 v18, v131, v6, v18
	v_cvt_f32_f16_e32 v18, v18
	v_lshrrev_b32_e32 v9, 2, v9
	s_or_b64 vcc, s[0:1], vcc
	v_addc_co_u32_e32 v9, vcc, 0, v9, vcc
	v_cvt_f64_f32_e32 v[18:19], v18
	v_cmp_gt_i32_e32 vcc, 31, v11
	v_cndmask_b32_e32 v9, v15, v9, vcc
	v_cmp_ne_u32_e32 vcc, 0, v7
	v_mul_f64 v[18:19], v[18:19], s[2:3]
	v_cndmask_b32_e64 v7, 0, 1, vcc
	v_lshl_or_b32 v7, v7, 9, v15
	v_cmp_eq_u32_e32 vcc, s10, v11
	v_cndmask_b32_e32 v7, v9, v7, vcc
	v_lshrrev_b32_e32 v9, 16, v21
	v_and_or_b32 v7, v9, s11, v7
	v_and_b32_e32 v5, 0xffff, v5
	v_lshl_or_b32 v5, v7, 16, v5
	v_mov_b32_e32 v7, s4
	v_add_co_u32_e32 v16, vcc, s5, v16
	v_addc_co_u32_e32 v17, vcc, v17, v7, vcc
	global_store_dword v[16:17], v5, off
	v_and_or_b32 v5, v19, s6, v18
	v_cmp_ne_u32_e32 vcc, 0, v5
	v_cndmask_b32_e64 v5, 0, 1, vcc
	v_lshrrev_b32_e32 v7, 8, v19
	v_and_or_b32 v9, v7, s7, v5
	v_bfe_u32 v7, v19, 20, 11
	v_sub_u32_e32 v11, 0x3f1, v7
	v_or_b32_e32 v5, 0x1000, v9
	v_med3_i32 v11, v11, 0, 13
	v_lshrrev_b32_e32 v18, v11, v5
	v_lshlrev_b32_e32 v11, v11, v18
	v_mul_f16_sdwa v6, v131, v6 dst_sel:DWORD dst_unused:UNUSED_PAD src0_sel:WORD_1 src1_sel:DWORD
	v_cmp_ne_u32_e32 vcc, v11, v5
	v_fma_f16 v6, v131, v13, -v6
	v_cndmask_b32_e64 v5, 0, 1, vcc
	v_add_u32_e32 v11, 0xfffffc10, v7
	v_cvt_f32_f16_e32 v6, v6
	v_or_b32_e32 v5, v18, v5
	v_lshl_or_b32 v7, v11, 12, v9
	v_cmp_gt_i32_e32 vcc, 1, v11
	v_cndmask_b32_e32 v5, v7, v5, vcc
	v_and_b32_e32 v7, 7, v5
	v_cmp_lt_i32_e32 vcc, 5, v7
	v_cmp_eq_u32_e64 s[0:1], 3, v7
	v_lshrrev_b32_e32 v7, 2, v5
	v_cvt_f64_f32_e32 v[5:6], v6
	s_or_b64 vcc, s[0:1], vcc
	v_addc_co_u32_e32 v7, vcc, 0, v7, vcc
	v_cmp_gt_i32_e32 vcc, 31, v11
	v_cndmask_b32_e32 v13, v15, v7, vcc
	v_mul_f64 v[6:7], v[5:6], s[2:3]
	v_cmp_ne_u32_e32 vcc, 0, v9
	v_cndmask_b32_e64 v5, 0, 1, vcc
	v_lshl_or_b32 v5, v5, 9, v15
	v_cmp_eq_u32_e32 vcc, s10, v11
	v_cndmask_b32_e32 v5, v13, v5, vcc
	v_lshrrev_b32_e32 v9, 16, v19
	v_and_or_b32 v9, v9, s11, v5
	v_and_or_b32 v5, v7, s6, v6
	v_cmp_ne_u32_e32 vcc, 0, v5
	v_cndmask_b32_e64 v5, 0, 1, vcc
	v_lshrrev_b32_e32 v6, 8, v7
	v_and_or_b32 v11, v6, s7, v5
	v_bfe_u32 v6, v7, 20, 11
	v_sub_u32_e32 v13, 0x3f1, v6
	v_or_b32_e32 v5, 0x1000, v11
	v_med3_i32 v13, v13, 0, 13
	v_lshrrev_b32_e32 v18, v13, v5
	v_lshlrev_b32_e32 v13, v13, v18
	v_cmp_ne_u32_e32 vcc, v13, v5
	v_cndmask_b32_e64 v5, 0, 1, vcc
	v_add_u32_e32 v13, 0xfffffc10, v6
	v_or_b32_e32 v5, v18, v5
	v_lshl_or_b32 v6, v13, 12, v11
	v_cmp_gt_i32_e32 vcc, 1, v13
	v_cndmask_b32_e32 v5, v6, v5, vcc
	v_and_b32_e32 v6, 7, v5
	v_cmp_lt_i32_e32 vcc, 5, v6
	v_cmp_eq_u32_e64 s[0:1], 3, v6
	v_lshrrev_b32_e32 v5, 2, v5
	s_or_b64 vcc, s[0:1], vcc
	v_addc_co_u32_e32 v18, vcc, 0, v5, vcc
	ds_read2_b32 v[5:6], v135 offset0:28 offset1:163
	v_cmp_gt_i32_e32 vcc, 31, v13
	v_cndmask_b32_e32 v18, v15, v18, vcc
	v_cmp_ne_u32_e32 vcc, 0, v11
	v_cndmask_b32_e64 v11, 0, 1, vcc
	s_waitcnt lgkmcnt(0)
	v_lshrrev_b32_e32 v20, 16, v5
	v_mul_f16_sdwa v19, v130, v20 dst_sel:DWORD dst_unused:UNUSED_PAD src0_sel:WORD_1 src1_sel:DWORD
	v_fma_f16 v19, v130, v5, v19
	v_cvt_f32_f16_e32 v19, v19
	v_lshl_or_b32 v11, v11, 9, v15
	v_cmp_eq_u32_e32 vcc, s10, v13
	v_cndmask_b32_e32 v11, v18, v11, vcc
	v_cvt_f64_f32_e32 v[18:19], v19
	v_mad_u64_u32 v[16:17], s[0:1], s8, v119, v[16:17]
	v_lshrrev_b32_e32 v7, 16, v7
	v_mul_f64 v[18:19], v[18:19], s[2:3]
	s_mul_i32 s0, s9, 0xffffc928
	v_and_or_b32 v7, v7, s11, v11
	v_and_b32_e32 v9, 0xffff, v9
	s_sub_i32 s9, s0, s8
	v_lshl_or_b32 v7, v7, 16, v9
	v_add_u32_e32 v17, s9, v17
	global_store_dword v[16:17], v7, off
	v_and_or_b32 v7, v19, s6, v18
	v_cmp_ne_u32_e32 vcc, 0, v7
	v_cndmask_b32_e64 v7, 0, 1, vcc
	v_lshrrev_b32_e32 v9, 8, v19
	v_bfe_u32 v11, v19, 20, 11
	v_mul_f16_sdwa v5, v130, v5 dst_sel:DWORD dst_unused:UNUSED_PAD src0_sel:WORD_1 src1_sel:DWORD
	v_and_or_b32 v7, v9, s7, v7
	v_sub_u32_e32 v13, 0x3f1, v11
	v_fma_f16 v5, v130, v20, -v5
	v_or_b32_e32 v9, 0x1000, v7
	v_med3_i32 v13, v13, 0, 13
	v_cvt_f32_f16_e32 v5, v5
	v_lshrrev_b32_e32 v18, v13, v9
	v_lshlrev_b32_e32 v13, v13, v18
	v_cmp_ne_u32_e32 vcc, v13, v9
	v_cndmask_b32_e64 v9, 0, 1, vcc
	v_add_u32_e32 v11, 0xfffffc10, v11
	v_cvt_f64_f32_e32 v[20:21], v5
	v_or_b32_e32 v9, v18, v9
	v_lshl_or_b32 v13, v11, 12, v7
	v_cmp_gt_i32_e32 vcc, 1, v11
	v_cndmask_b32_e32 v9, v13, v9, vcc
	v_and_b32_e32 v13, 7, v9
	v_cmp_lt_i32_e32 vcc, 5, v13
	v_cmp_eq_u32_e64 s[0:1], 3, v13
	v_mul_f64 v[20:21], v[20:21], s[2:3]
	v_lshrrev_b32_e32 v9, 2, v9
	s_or_b64 vcc, s[0:1], vcc
	v_addc_co_u32_e32 v5, vcc, 0, v9, vcc
	v_cmp_gt_i32_e32 vcc, 31, v11
	v_cndmask_b32_e32 v5, v15, v5, vcc
	v_cmp_ne_u32_e32 vcc, 0, v7
	v_cndmask_b32_e64 v7, 0, 1, vcc
	v_lshl_or_b32 v7, v7, 9, v15
	v_cmp_eq_u32_e32 vcc, s10, v11
	v_cndmask_b32_e32 v5, v5, v7, vcc
	v_lshrrev_b32_e32 v7, 16, v19
	v_and_or_b32 v5, v7, s11, v5
	v_and_or_b32 v7, v21, s6, v20
	v_cmp_ne_u32_e32 vcc, 0, v7
	v_cndmask_b32_e64 v7, 0, 1, vcc
	v_lshrrev_b32_e32 v9, 8, v21
	v_bfe_u32 v11, v21, 20, 11
	v_and_or_b32 v7, v9, s7, v7
	v_sub_u32_e32 v13, 0x3f1, v11
	v_or_b32_e32 v9, 0x1000, v7
	v_med3_i32 v13, v13, 0, 13
	v_lshrrev_b32_e32 v18, v13, v9
	v_lshlrev_b32_e32 v13, v13, v18
	v_cmp_ne_u32_e32 vcc, v13, v9
	v_cndmask_b32_e64 v9, 0, 1, vcc
	v_add_u32_e32 v11, 0xfffffc10, v11
	v_or_b32_e32 v9, v18, v9
	v_lshl_or_b32 v13, v11, 12, v7
	v_cmp_gt_i32_e32 vcc, 1, v11
	v_cndmask_b32_e32 v9, v13, v9, vcc
	v_and_b32_e32 v13, 7, v9
	v_cmp_lt_i32_e32 vcc, 5, v13
	v_cmp_eq_u32_e64 s[0:1], 3, v13
	v_lshrrev_b32_e32 v13, 16, v8
	v_mul_f16_sdwa v18, v127, v13 dst_sel:DWORD dst_unused:UNUSED_PAD src0_sel:WORD_1 src1_sel:DWORD
	v_fma_f16 v18, v127, v8, v18
	v_cvt_f32_f16_e32 v18, v18
	v_lshrrev_b32_e32 v9, 2, v9
	s_or_b64 vcc, s[0:1], vcc
	v_addc_co_u32_e32 v9, vcc, 0, v9, vcc
	v_cvt_f64_f32_e32 v[18:19], v18
	v_cmp_gt_i32_e32 vcc, 31, v11
	v_cndmask_b32_e32 v9, v15, v9, vcc
	v_cmp_ne_u32_e32 vcc, 0, v7
	v_mul_f64 v[18:19], v[18:19], s[2:3]
	v_cndmask_b32_e64 v7, 0, 1, vcc
	v_lshl_or_b32 v7, v7, 9, v15
	v_cmp_eq_u32_e32 vcc, s10, v11
	v_cndmask_b32_e32 v7, v9, v7, vcc
	v_lshrrev_b32_e32 v9, 16, v21
	v_and_or_b32 v7, v9, s11, v7
	v_and_b32_e32 v5, 0xffff, v5
	v_lshl_or_b32 v5, v7, 16, v5
	v_mov_b32_e32 v7, s4
	v_add_co_u32_e32 v16, vcc, s5, v16
	v_addc_co_u32_e32 v17, vcc, v17, v7, vcc
	global_store_dword v[16:17], v5, off
	v_and_or_b32 v5, v19, s6, v18
	v_cmp_ne_u32_e32 vcc, 0, v5
	v_cndmask_b32_e64 v5, 0, 1, vcc
	v_lshrrev_b32_e32 v7, 8, v19
	v_bfe_u32 v9, v19, 20, 11
	v_and_or_b32 v5, v7, s7, v5
	v_sub_u32_e32 v11, 0x3f1, v9
	v_or_b32_e32 v7, 0x1000, v5
	v_med3_i32 v11, v11, 0, 13
	v_lshrrev_b32_e32 v18, v11, v7
	v_lshlrev_b32_e32 v11, v11, v18
	v_mul_f16_sdwa v8, v127, v8 dst_sel:DWORD dst_unused:UNUSED_PAD src0_sel:WORD_1 src1_sel:DWORD
	v_cmp_ne_u32_e32 vcc, v11, v7
	v_fma_f16 v8, v127, v13, -v8
	v_cndmask_b32_e64 v7, 0, 1, vcc
	v_add_u32_e32 v11, 0xfffffc10, v9
	v_cvt_f32_f16_e32 v8, v8
	v_or_b32_e32 v7, v18, v7
	v_lshl_or_b32 v9, v11, 12, v5
	v_cmp_gt_i32_e32 vcc, 1, v11
	v_cndmask_b32_e32 v7, v9, v7, vcc
	v_and_b32_e32 v9, 7, v7
	v_cmp_lt_i32_e32 vcc, 5, v9
	v_cmp_eq_u32_e64 s[0:1], 3, v9
	v_lshrrev_b32_e32 v9, 2, v7
	v_cvt_f64_f32_e32 v[7:8], v8
	s_or_b64 vcc, s[0:1], vcc
	v_addc_co_u32_e32 v9, vcc, 0, v9, vcc
	v_cmp_gt_i32_e32 vcc, 31, v11
	v_cndmask_b32_e32 v13, v15, v9, vcc
	v_mul_f64 v[8:9], v[7:8], s[2:3]
	v_cmp_ne_u32_e32 vcc, 0, v5
	v_cndmask_b32_e64 v5, 0, 1, vcc
	v_lshl_or_b32 v5, v5, 9, v15
	v_cmp_eq_u32_e32 vcc, s10, v11
	v_cndmask_b32_e32 v5, v13, v5, vcc
	v_lshrrev_b32_e32 v7, 16, v19
	v_and_or_b32 v5, v7, s11, v5
	v_and_or_b32 v7, v9, s6, v8
	v_cmp_ne_u32_e32 vcc, 0, v7
	v_cndmask_b32_e64 v7, 0, 1, vcc
	v_lshrrev_b32_e32 v8, 8, v9
	v_and_or_b32 v11, v8, s7, v7
	v_bfe_u32 v8, v9, 20, 11
	v_sub_u32_e32 v13, 0x3f1, v8
	v_or_b32_e32 v7, 0x1000, v11
	v_med3_i32 v13, v13, 0, 13
	v_lshrrev_b32_e32 v18, v13, v7
	v_lshlrev_b32_e32 v13, v13, v18
	v_cmp_ne_u32_e32 vcc, v13, v7
	v_cndmask_b32_e64 v7, 0, 1, vcc
	v_add_u32_e32 v13, 0xfffffc10, v8
	v_or_b32_e32 v7, v18, v7
	v_lshl_or_b32 v8, v13, 12, v11
	v_cmp_gt_i32_e32 vcc, 1, v13
	v_cndmask_b32_e32 v7, v8, v7, vcc
	v_and_b32_e32 v8, 7, v7
	v_cmp_lt_i32_e32 vcc, 5, v8
	v_cmp_eq_u32_e64 s[0:1], 3, v8
	v_lshrrev_b32_e32 v7, 2, v7
	s_or_b64 vcc, s[0:1], vcc
	v_addc_co_u32_e32 v18, vcc, 0, v7, vcc
	ds_read2_b32 v[7:8], v133 offset0:70 offset1:205
	v_cmp_gt_i32_e32 vcc, 31, v13
	v_cndmask_b32_e32 v18, v15, v18, vcc
	v_cmp_ne_u32_e32 vcc, 0, v11
	v_cndmask_b32_e64 v11, 0, 1, vcc
	s_waitcnt lgkmcnt(0)
	v_lshrrev_b32_e32 v20, 16, v7
	v_mul_f16_sdwa v19, v128, v20 dst_sel:DWORD dst_unused:UNUSED_PAD src0_sel:WORD_1 src1_sel:DWORD
	v_fma_f16 v19, v128, v7, v19
	v_cvt_f32_f16_e32 v19, v19
	v_lshl_or_b32 v11, v11, 9, v15
	v_cmp_eq_u32_e32 vcc, s10, v13
	v_cndmask_b32_e32 v11, v18, v11, vcc
	v_cvt_f64_f32_e32 v[18:19], v19
	v_lshrrev_b32_e32 v9, 16, v9
	v_and_or_b32 v9, v9, s11, v11
	v_and_b32_e32 v5, 0xffff, v5
	v_mul_f64 v[18:19], v[18:19], s[2:3]
	v_lshl_or_b32 v5, v9, 16, v5
	v_mov_b32_e32 v9, s4
	v_add_co_u32_e32 v16, vcc, s5, v16
	v_addc_co_u32_e32 v17, vcc, v17, v9, vcc
	global_store_dword v[16:17], v5, off
	v_and_or_b32 v5, v19, s6, v18
	v_cmp_ne_u32_e32 vcc, 0, v5
	v_cndmask_b32_e64 v5, 0, 1, vcc
	v_lshrrev_b32_e32 v9, 8, v19
	v_bfe_u32 v11, v19, 20, 11
	v_mul_f16_sdwa v7, v128, v7 dst_sel:DWORD dst_unused:UNUSED_PAD src0_sel:WORD_1 src1_sel:DWORD
	v_and_or_b32 v5, v9, s7, v5
	v_sub_u32_e32 v13, 0x3f1, v11
	v_fma_f16 v7, v128, v20, -v7
	v_or_b32_e32 v9, 0x1000, v5
	v_med3_i32 v13, v13, 0, 13
	v_cvt_f32_f16_e32 v7, v7
	v_lshrrev_b32_e32 v18, v13, v9
	v_lshlrev_b32_e32 v13, v13, v18
	v_cmp_ne_u32_e32 vcc, v13, v9
	v_cndmask_b32_e64 v9, 0, 1, vcc
	v_add_u32_e32 v11, 0xfffffc10, v11
	v_cvt_f64_f32_e32 v[20:21], v7
	v_or_b32_e32 v9, v18, v9
	v_lshl_or_b32 v13, v11, 12, v5
	v_cmp_gt_i32_e32 vcc, 1, v11
	v_cndmask_b32_e32 v9, v13, v9, vcc
	v_and_b32_e32 v13, 7, v9
	v_cmp_lt_i32_e32 vcc, 5, v13
	v_cmp_eq_u32_e64 s[0:1], 3, v13
	v_mul_f64 v[20:21], v[20:21], s[2:3]
	v_lshrrev_b32_e32 v9, 2, v9
	s_or_b64 vcc, s[0:1], vcc
	v_addc_co_u32_e32 v7, vcc, 0, v9, vcc
	v_cmp_gt_i32_e32 vcc, 31, v11
	v_cndmask_b32_e32 v7, v15, v7, vcc
	v_cmp_ne_u32_e32 vcc, 0, v5
	v_cndmask_b32_e64 v5, 0, 1, vcc
	v_lshl_or_b32 v5, v5, 9, v15
	v_cmp_eq_u32_e32 vcc, s10, v11
	v_cndmask_b32_e32 v5, v7, v5, vcc
	v_lshrrev_b32_e32 v7, 16, v19
	v_and_or_b32 v5, v7, s11, v5
	v_and_or_b32 v7, v21, s6, v20
	v_cmp_ne_u32_e32 vcc, 0, v7
	v_cndmask_b32_e64 v7, 0, 1, vcc
	v_lshrrev_b32_e32 v9, 8, v21
	v_bfe_u32 v11, v21, 20, 11
	v_and_or_b32 v7, v9, s7, v7
	v_sub_u32_e32 v13, 0x3f1, v11
	v_or_b32_e32 v9, 0x1000, v7
	v_med3_i32 v13, v13, 0, 13
	v_lshrrev_b32_e32 v18, v13, v9
	v_lshlrev_b32_e32 v13, v13, v18
	v_cmp_ne_u32_e32 vcc, v13, v9
	v_cndmask_b32_e64 v9, 0, 1, vcc
	v_add_u32_e32 v11, 0xfffffc10, v11
	v_or_b32_e32 v9, v18, v9
	v_lshl_or_b32 v13, v11, 12, v7
	v_cmp_gt_i32_e32 vcc, 1, v11
	v_cndmask_b32_e32 v9, v13, v9, vcc
	v_and_b32_e32 v13, 7, v9
	v_cmp_lt_i32_e32 vcc, 5, v13
	v_cmp_eq_u32_e64 s[0:1], 3, v13
	v_lshrrev_b32_e32 v13, 16, v10
	v_mul_f16_sdwa v18, v126, v13 dst_sel:DWORD dst_unused:UNUSED_PAD src0_sel:WORD_1 src1_sel:DWORD
	v_fma_f16 v18, v126, v10, v18
	v_cvt_f32_f16_e32 v18, v18
	v_lshrrev_b32_e32 v9, 2, v9
	s_or_b64 vcc, s[0:1], vcc
	v_addc_co_u32_e32 v9, vcc, 0, v9, vcc
	v_cvt_f64_f32_e32 v[18:19], v18
	v_cmp_gt_i32_e32 vcc, 31, v11
	v_cndmask_b32_e32 v9, v15, v9, vcc
	v_cmp_ne_u32_e32 vcc, 0, v7
	v_mul_f64 v[18:19], v[18:19], s[2:3]
	v_cndmask_b32_e64 v7, 0, 1, vcc
	v_lshl_or_b32 v7, v7, 9, v15
	v_cmp_eq_u32_e32 vcc, s10, v11
	v_cndmask_b32_e32 v7, v9, v7, vcc
	v_lshrrev_b32_e32 v9, 16, v21
	v_and_or_b32 v7, v9, s11, v7
	v_and_b32_e32 v5, 0xffff, v5
	v_lshl_or_b32 v5, v7, 16, v5
	v_mov_b32_e32 v7, s4
	v_add_co_u32_e32 v16, vcc, s5, v16
	v_addc_co_u32_e32 v17, vcc, v17, v7, vcc
	global_store_dword v[16:17], v5, off
	v_and_or_b32 v5, v19, s6, v18
	v_cmp_ne_u32_e32 vcc, 0, v5
	v_cndmask_b32_e64 v5, 0, 1, vcc
	v_lshrrev_b32_e32 v7, 8, v19
	v_bfe_u32 v9, v19, 20, 11
	v_and_or_b32 v5, v7, s7, v5
	v_sub_u32_e32 v11, 0x3f1, v9
	v_or_b32_e32 v7, 0x1000, v5
	v_med3_i32 v11, v11, 0, 13
	v_lshrrev_b32_e32 v18, v11, v7
	v_lshlrev_b32_e32 v11, v11, v18
	v_cmp_ne_u32_e32 vcc, v11, v7
	v_mul_f16_sdwa v10, v126, v10 dst_sel:DWORD dst_unused:UNUSED_PAD src0_sel:WORD_1 src1_sel:DWORD
	v_cndmask_b32_e64 v7, 0, 1, vcc
	v_fma_f16 v10, v126, v13, -v10
	v_or_b32_e32 v7, v18, v7
	v_add_u32_e32 v18, 0xfffffc10, v9
	v_cvt_f32_f16_e32 v10, v10
	v_lshl_or_b32 v9, v18, 12, v5
	v_cmp_gt_i32_e32 vcc, 1, v18
	v_cndmask_b32_e32 v7, v9, v7, vcc
	v_and_b32_e32 v9, 7, v7
	v_cmp_lt_i32_e32 vcc, 5, v9
	v_cmp_eq_u32_e64 s[0:1], 3, v9
	v_cvt_f64_f32_e32 v[9:10], v10
	v_lshrrev_b32_e32 v7, 2, v7
	s_or_b64 vcc, s[0:1], vcc
	v_addc_co_u32_e32 v7, vcc, 0, v7, vcc
	v_mul_f64 v[10:11], v[9:10], s[2:3]
	v_cmp_gt_i32_e32 vcc, 31, v18
	v_cndmask_b32_e32 v7, v15, v7, vcc
	v_cmp_ne_u32_e32 vcc, 0, v5
	v_cndmask_b32_e64 v5, 0, 1, vcc
	v_lshl_or_b32 v5, v5, 9, v15
	v_cmp_eq_u32_e32 vcc, s10, v18
	v_cndmask_b32_e32 v5, v7, v5, vcc
	v_lshrrev_b32_e32 v7, 16, v19
	v_and_or_b32 v5, v7, s11, v5
	v_and_or_b32 v7, v11, s6, v10
	v_cmp_ne_u32_e32 vcc, 0, v7
	v_cndmask_b32_e64 v7, 0, 1, vcc
	v_lshrrev_b32_e32 v9, 8, v11
	v_bfe_u32 v10, v11, 20, 11
	v_and_or_b32 v7, v9, s7, v7
	v_sub_u32_e32 v13, 0x3f1, v10
	v_or_b32_e32 v9, 0x1000, v7
	v_med3_i32 v13, v13, 0, 13
	v_lshrrev_b32_e32 v18, v13, v9
	v_lshlrev_b32_e32 v13, v13, v18
	v_cmp_ne_u32_e32 vcc, v13, v9
	v_cndmask_b32_e64 v9, 0, 1, vcc
	v_add_u32_e32 v13, 0xfffffc10, v10
	v_or_b32_e32 v9, v18, v9
	v_lshl_or_b32 v10, v13, 12, v7
	v_cmp_gt_i32_e32 vcc, 1, v13
	v_cndmask_b32_e32 v9, v10, v9, vcc
	v_and_b32_e32 v10, 7, v9
	v_cmp_lt_i32_e32 vcc, 5, v10
	v_cmp_eq_u32_e64 s[0:1], 3, v10
	v_lshrrev_b32_e32 v9, 2, v9
	s_or_b64 vcc, s[0:1], vcc
	v_addc_co_u32_e32 v18, vcc, 0, v9, vcc
	ds_read2_b32 v[9:10], v132 offset0:112 offset1:247
	v_cmp_gt_i32_e32 vcc, 31, v13
	v_cndmask_b32_e32 v18, v15, v18, vcc
	v_cmp_ne_u32_e32 vcc, 0, v7
	v_cndmask_b32_e64 v7, 0, 1, vcc
	s_waitcnt lgkmcnt(0)
	v_lshrrev_b32_e32 v20, 16, v9
	v_mul_f16_sdwa v19, v125, v20 dst_sel:DWORD dst_unused:UNUSED_PAD src0_sel:WORD_1 src1_sel:DWORD
	v_fma_f16 v19, v125, v9, v19
	v_cvt_f32_f16_e32 v19, v19
	v_lshl_or_b32 v7, v7, 9, v15
	v_cmp_eq_u32_e32 vcc, s10, v13
	v_cndmask_b32_e32 v7, v18, v7, vcc
	v_cvt_f64_f32_e32 v[18:19], v19
	v_lshrrev_b32_e32 v11, 16, v11
	v_and_or_b32 v7, v11, s11, v7
	v_and_b32_e32 v5, 0xffff, v5
	v_mul_f64 v[18:19], v[18:19], s[2:3]
	v_lshl_or_b32 v5, v7, 16, v5
	v_mov_b32_e32 v7, s4
	v_add_co_u32_e32 v16, vcc, s5, v16
	v_addc_co_u32_e32 v17, vcc, v17, v7, vcc
	global_store_dword v[16:17], v5, off
	v_and_or_b32 v5, v19, s6, v18
	v_cmp_ne_u32_e32 vcc, 0, v5
	v_cndmask_b32_e64 v5, 0, 1, vcc
	v_lshrrev_b32_e32 v7, 8, v19
	v_bfe_u32 v11, v19, 20, 11
	v_mul_f16_sdwa v9, v125, v9 dst_sel:DWORD dst_unused:UNUSED_PAD src0_sel:WORD_1 src1_sel:DWORD
	v_and_or_b32 v5, v7, s7, v5
	v_sub_u32_e32 v13, 0x3f1, v11
	v_fma_f16 v9, v125, v20, -v9
	v_or_b32_e32 v7, 0x1000, v5
	v_med3_i32 v13, v13, 0, 13
	v_cvt_f32_f16_e32 v9, v9
	v_lshrrev_b32_e32 v18, v13, v7
	v_lshlrev_b32_e32 v13, v13, v18
	v_cmp_ne_u32_e32 vcc, v13, v7
	v_cndmask_b32_e64 v7, 0, 1, vcc
	v_add_u32_e32 v11, 0xfffffc10, v11
	v_cvt_f64_f32_e32 v[20:21], v9
	v_or_b32_e32 v7, v18, v7
	v_lshl_or_b32 v13, v11, 12, v5
	v_cmp_gt_i32_e32 vcc, 1, v11
	v_cndmask_b32_e32 v7, v13, v7, vcc
	v_and_b32_e32 v13, 7, v7
	v_cmp_lt_i32_e32 vcc, 5, v13
	v_cmp_eq_u32_e64 s[0:1], 3, v13
	v_mul_f64 v[20:21], v[20:21], s[2:3]
	v_lshrrev_b32_e32 v7, 2, v7
	s_or_b64 vcc, s[0:1], vcc
	v_addc_co_u32_e32 v7, vcc, 0, v7, vcc
	v_cmp_gt_i32_e32 vcc, 31, v11
	v_cndmask_b32_e32 v7, v15, v7, vcc
	v_cmp_ne_u32_e32 vcc, 0, v5
	v_cndmask_b32_e64 v5, 0, 1, vcc
	v_lshl_or_b32 v5, v5, 9, v15
	v_cmp_eq_u32_e32 vcc, s10, v11
	v_cndmask_b32_e32 v5, v7, v5, vcc
	v_lshrrev_b32_e32 v7, 16, v19
	v_and_or_b32 v5, v7, s11, v5
	v_and_or_b32 v7, v21, s6, v20
	v_cmp_ne_u32_e32 vcc, 0, v7
	v_cndmask_b32_e64 v7, 0, 1, vcc
	v_lshrrev_b32_e32 v9, 8, v21
	v_bfe_u32 v11, v21, 20, 11
	v_and_or_b32 v7, v9, s7, v7
	v_sub_u32_e32 v13, 0x3f1, v11
	v_or_b32_e32 v9, 0x1000, v7
	v_med3_i32 v13, v13, 0, 13
	v_lshrrev_b32_e32 v18, v13, v9
	v_lshlrev_b32_e32 v13, v13, v18
	v_cmp_ne_u32_e32 vcc, v13, v9
	v_cndmask_b32_e64 v9, 0, 1, vcc
	v_add_u32_e32 v11, 0xfffffc10, v11
	v_or_b32_e32 v9, v18, v9
	v_lshl_or_b32 v13, v11, 12, v7
	v_cmp_gt_i32_e32 vcc, 1, v11
	v_cndmask_b32_e32 v9, v13, v9, vcc
	v_and_b32_e32 v13, 7, v9
	v_cmp_lt_i32_e32 vcc, 5, v13
	v_cmp_eq_u32_e64 s[0:1], 3, v13
	v_lshrrev_b32_e32 v13, 16, v12
	v_mul_f16_sdwa v18, v123, v13 dst_sel:DWORD dst_unused:UNUSED_PAD src0_sel:WORD_1 src1_sel:DWORD
	v_fma_f16 v18, v123, v12, v18
	v_cvt_f32_f16_e32 v18, v18
	v_lshrrev_b32_e32 v9, 2, v9
	s_or_b64 vcc, s[0:1], vcc
	v_addc_co_u32_e32 v9, vcc, 0, v9, vcc
	v_cvt_f64_f32_e32 v[18:19], v18
	v_cmp_gt_i32_e32 vcc, 31, v11
	v_cndmask_b32_e32 v9, v15, v9, vcc
	v_cmp_ne_u32_e32 vcc, 0, v7
	v_mul_f64 v[18:19], v[18:19], s[2:3]
	v_cndmask_b32_e64 v7, 0, 1, vcc
	v_lshl_or_b32 v7, v7, 9, v15
	v_cmp_eq_u32_e32 vcc, s10, v11
	v_cndmask_b32_e32 v7, v9, v7, vcc
	v_lshrrev_b32_e32 v9, 16, v21
	v_and_or_b32 v7, v9, s11, v7
	v_and_b32_e32 v5, 0xffff, v5
	v_lshl_or_b32 v5, v7, 16, v5
	v_mov_b32_e32 v7, s4
	v_add_co_u32_e32 v16, vcc, s5, v16
	v_addc_co_u32_e32 v17, vcc, v17, v7, vcc
	global_store_dword v[16:17], v5, off
	v_and_or_b32 v5, v19, s6, v18
	v_cmp_ne_u32_e32 vcc, 0, v5
	v_cndmask_b32_e64 v5, 0, 1, vcc
	v_lshrrev_b32_e32 v7, 8, v19
	v_bfe_u32 v9, v19, 20, 11
	v_and_or_b32 v5, v7, s7, v5
	v_sub_u32_e32 v11, 0x3f1, v9
	v_or_b32_e32 v7, 0x1000, v5
	v_med3_i32 v11, v11, 0, 13
	v_lshrrev_b32_e32 v18, v11, v7
	v_lshlrev_b32_e32 v11, v11, v18
	v_mul_f16_sdwa v12, v123, v12 dst_sel:DWORD dst_unused:UNUSED_PAD src0_sel:WORD_1 src1_sel:DWORD
	v_cmp_ne_u32_e32 vcc, v11, v7
	v_fma_f16 v12, v123, v13, -v12
	v_cndmask_b32_e64 v7, 0, 1, vcc
	v_add_u32_e32 v9, 0xfffffc10, v9
	v_cvt_f32_f16_e32 v12, v12
	v_or_b32_e32 v7, v18, v7
	v_lshl_or_b32 v11, v9, 12, v5
	v_cmp_gt_i32_e32 vcc, 1, v9
	v_cndmask_b32_e32 v7, v11, v7, vcc
	v_and_b32_e32 v11, 7, v7
	v_cmp_lt_i32_e32 vcc, 5, v11
	v_cmp_eq_u32_e64 s[0:1], 3, v11
	v_cvt_f64_f32_e32 v[11:12], v12
	v_lshrrev_b32_e32 v7, 2, v7
	s_or_b64 vcc, s[0:1], vcc
	v_addc_co_u32_e32 v7, vcc, 0, v7, vcc
	v_mul_f64 v[12:13], v[11:12], s[2:3]
	v_cmp_gt_i32_e32 vcc, 31, v9
	v_cndmask_b32_e32 v7, v15, v7, vcc
	v_cmp_ne_u32_e32 vcc, 0, v5
	v_cndmask_b32_e64 v5, 0, 1, vcc
	v_lshl_or_b32 v5, v5, 9, v15
	v_cmp_eq_u32_e32 vcc, s10, v9
	v_cndmask_b32_e32 v5, v7, v5, vcc
	v_lshrrev_b32_e32 v7, 16, v19
	v_and_or_b32 v5, v7, s11, v5
	v_and_or_b32 v7, v13, s6, v12
	v_cmp_ne_u32_e32 vcc, 0, v7
	v_cndmask_b32_e64 v7, 0, 1, vcc
	v_lshrrev_b32_e32 v9, 8, v13
	v_bfe_u32 v11, v13, 20, 11
	v_and_or_b32 v7, v9, s7, v7
	v_sub_u32_e32 v12, 0x3f1, v11
	v_or_b32_e32 v9, 0x1000, v7
	v_med3_i32 v12, v12, 0, 13
	v_lshrrev_b32_e32 v18, v12, v9
	v_lshlrev_b32_e32 v12, v12, v18
	v_cmp_ne_u32_e32 vcc, v12, v9
	v_cndmask_b32_e64 v9, 0, 1, vcc
	v_or_b32_e32 v9, v18, v9
	v_add_u32_e32 v18, 0xfffffc10, v11
	v_lshl_or_b32 v11, v18, 12, v7
	v_cmp_gt_i32_e32 vcc, 1, v18
	v_cndmask_b32_e32 v9, v11, v9, vcc
	v_and_b32_e32 v11, 7, v9
	v_cmp_lt_i32_e32 vcc, 5, v11
	v_cmp_eq_u32_e64 s[0:1], 3, v11
	ds_read2_b32 v[11:12], v129 offset0:26 offset1:161
	v_lshrrev_b32_e32 v9, 2, v9
	s_or_b64 vcc, s[0:1], vcc
	v_addc_co_u32_e32 v9, vcc, 0, v9, vcc
	s_waitcnt lgkmcnt(0)
	v_lshrrev_b32_e32 v20, 16, v11
	v_mul_f16_sdwa v19, v122, v20 dst_sel:DWORD dst_unused:UNUSED_PAD src0_sel:WORD_1 src1_sel:DWORD
	v_fma_f16 v19, v122, v11, v19
	v_cvt_f32_f16_e32 v19, v19
	v_cmp_gt_i32_e32 vcc, 31, v18
	v_cndmask_b32_e32 v9, v15, v9, vcc
	v_cmp_ne_u32_e32 vcc, 0, v7
	v_cndmask_b32_e64 v7, 0, 1, vcc
	v_cmp_eq_u32_e32 vcc, s10, v18
	v_cvt_f64_f32_e32 v[18:19], v19
	v_lshl_or_b32 v7, v7, 9, v15
	v_cndmask_b32_e32 v7, v9, v7, vcc
	v_lshrrev_b32_e32 v9, 16, v13
	v_mul_f64 v[18:19], v[18:19], s[2:3]
	v_and_or_b32 v7, v9, s11, v7
	v_and_b32_e32 v5, 0xffff, v5
	v_lshl_or_b32 v5, v7, 16, v5
	v_mov_b32_e32 v7, s4
	v_add_co_u32_e32 v16, vcc, s5, v16
	v_addc_co_u32_e32 v17, vcc, v17, v7, vcc
	global_store_dword v[16:17], v5, off
	v_and_or_b32 v5, v19, s6, v18
	v_cmp_ne_u32_e32 vcc, 0, v5
	v_cndmask_b32_e64 v5, 0, 1, vcc
	v_lshrrev_b32_e32 v7, 8, v19
	v_bfe_u32 v9, v19, 20, 11
	v_mul_f16_sdwa v11, v122, v11 dst_sel:DWORD dst_unused:UNUSED_PAD src0_sel:WORD_1 src1_sel:DWORD
	v_and_or_b32 v5, v7, s7, v5
	v_sub_u32_e32 v13, 0x3f1, v9
	v_fma_f16 v11, v122, v20, -v11
	v_or_b32_e32 v7, 0x1000, v5
	v_med3_i32 v13, v13, 0, 13
	v_cvt_f32_f16_e32 v11, v11
	v_lshrrev_b32_e32 v18, v13, v7
	v_lshlrev_b32_e32 v13, v13, v18
	v_cmp_ne_u32_e32 vcc, v13, v7
	v_cndmask_b32_e64 v7, 0, 1, vcc
	v_add_u32_e32 v9, 0xfffffc10, v9
	v_cvt_f64_f32_e32 v[20:21], v11
	v_or_b32_e32 v7, v18, v7
	v_lshl_or_b32 v13, v9, 12, v5
	v_cmp_gt_i32_e32 vcc, 1, v9
	v_cndmask_b32_e32 v7, v13, v7, vcc
	v_and_b32_e32 v13, 7, v7
	v_cmp_lt_i32_e32 vcc, 5, v13
	v_cmp_eq_u32_e64 s[0:1], 3, v13
	v_mul_f64 v[20:21], v[20:21], s[2:3]
	v_lshrrev_b32_e32 v7, 2, v7
	s_or_b64 vcc, s[0:1], vcc
	v_addc_co_u32_e32 v7, vcc, 0, v7, vcc
	v_cmp_gt_i32_e32 vcc, 31, v9
	v_cndmask_b32_e32 v7, v15, v7, vcc
	v_cmp_ne_u32_e32 vcc, 0, v5
	v_cndmask_b32_e64 v5, 0, 1, vcc
	v_lshl_or_b32 v5, v5, 9, v15
	v_cmp_eq_u32_e32 vcc, s10, v9
	v_cndmask_b32_e32 v5, v7, v5, vcc
	v_lshrrev_b32_e32 v7, 16, v19
	v_and_or_b32 v5, v7, s11, v5
	v_and_or_b32 v7, v21, s6, v20
	v_cmp_ne_u32_e32 vcc, 0, v7
	v_cndmask_b32_e64 v7, 0, 1, vcc
	v_lshrrev_b32_e32 v9, 8, v21
	v_bfe_u32 v11, v21, 20, 11
	v_and_or_b32 v7, v9, s7, v7
	v_sub_u32_e32 v13, 0x3f1, v11
	v_or_b32_e32 v9, 0x1000, v7
	v_med3_i32 v13, v13, 0, 13
	v_lshrrev_b32_e32 v18, v13, v9
	v_lshlrev_b32_e32 v13, v13, v18
	v_cmp_ne_u32_e32 vcc, v13, v9
	v_cndmask_b32_e64 v9, 0, 1, vcc
	v_add_u32_e32 v11, 0xfffffc10, v11
	v_or_b32_e32 v9, v18, v9
	v_lshl_or_b32 v13, v11, 12, v7
	v_cmp_gt_i32_e32 vcc, 1, v11
	v_cndmask_b32_e32 v9, v13, v9, vcc
	v_and_b32_e32 v13, 7, v9
	v_cmp_lt_i32_e32 vcc, 5, v13
	v_cmp_eq_u32_e64 s[0:1], 3, v13
	v_lshrrev_b32_e32 v13, 16, v14
	v_mul_f16_sdwa v18, v121, v13 dst_sel:DWORD dst_unused:UNUSED_PAD src0_sel:WORD_1 src1_sel:DWORD
	v_fma_f16 v18, v121, v14, v18
	v_cvt_f32_f16_e32 v18, v18
	v_lshrrev_b32_e32 v9, 2, v9
	s_or_b64 vcc, s[0:1], vcc
	v_addc_co_u32_e32 v9, vcc, 0, v9, vcc
	v_cvt_f64_f32_e32 v[18:19], v18
	v_cmp_gt_i32_e32 vcc, 31, v11
	v_cndmask_b32_e32 v9, v15, v9, vcc
	v_cmp_ne_u32_e32 vcc, 0, v7
	v_mul_f64 v[18:19], v[18:19], s[2:3]
	v_cndmask_b32_e64 v7, 0, 1, vcc
	v_lshl_or_b32 v7, v7, 9, v15
	v_cmp_eq_u32_e32 vcc, s10, v11
	v_cndmask_b32_e32 v7, v9, v7, vcc
	v_lshrrev_b32_e32 v9, 16, v21
	v_and_or_b32 v7, v9, s11, v7
	v_and_b32_e32 v5, 0xffff, v5
	v_lshl_or_b32 v5, v7, 16, v5
	v_mov_b32_e32 v7, s4
	v_add_co_u32_e32 v16, vcc, s5, v16
	v_addc_co_u32_e32 v17, vcc, v17, v7, vcc
	global_store_dword v[16:17], v5, off
	v_and_or_b32 v5, v19, s6, v18
	v_cmp_ne_u32_e32 vcc, 0, v5
	v_cndmask_b32_e64 v5, 0, 1, vcc
	v_lshrrev_b32_e32 v7, 8, v19
	v_bfe_u32 v9, v19, 20, 11
	v_mul_f16_sdwa v14, v121, v14 dst_sel:DWORD dst_unused:UNUSED_PAD src0_sel:WORD_1 src1_sel:DWORD
	v_and_or_b32 v5, v7, s7, v5
	v_sub_u32_e32 v11, 0x3f1, v9
	v_fma_f16 v13, v121, v13, -v14
	v_or_b32_e32 v7, 0x1000, v5
	v_med3_i32 v11, v11, 0, 13
	v_cvt_f32_f16_e32 v13, v13
	v_lshrrev_b32_e32 v18, v11, v7
	v_lshlrev_b32_e32 v11, v11, v18
	v_cmp_ne_u32_e32 vcc, v11, v7
	v_cndmask_b32_e64 v7, 0, 1, vcc
	v_add_u32_e32 v9, 0xfffffc10, v9
	v_cvt_f64_f32_e32 v[13:14], v13
	v_or_b32_e32 v7, v18, v7
	v_lshl_or_b32 v11, v9, 12, v5
	v_cmp_gt_i32_e32 vcc, 1, v9
	v_cndmask_b32_e32 v7, v11, v7, vcc
	v_and_b32_e32 v11, 7, v7
	v_cmp_lt_i32_e32 vcc, 5, v11
	v_cmp_eq_u32_e64 s[0:1], 3, v11
	v_mul_f64 v[20:21], v[13:14], s[2:3]
	v_lshrrev_b32_e32 v7, 2, v7
	s_or_b64 vcc, s[0:1], vcc
	v_addc_co_u32_e32 v7, vcc, 0, v7, vcc
	v_cmp_gt_i32_e32 vcc, 31, v9
	v_cndmask_b32_e32 v7, v15, v7, vcc
	v_cmp_ne_u32_e32 vcc, 0, v5
	v_cndmask_b32_e64 v5, 0, 1, vcc
	v_lshl_or_b32 v5, v5, 9, v15
	v_cmp_eq_u32_e32 vcc, s10, v9
	v_cndmask_b32_e32 v5, v7, v5, vcc
	v_lshrrev_b32_e32 v7, 16, v19
	v_and_or_b32 v5, v7, s11, v5
	v_and_or_b32 v7, v21, s6, v20
	v_cmp_ne_u32_e32 vcc, 0, v7
	v_cndmask_b32_e64 v7, 0, 1, vcc
	v_lshrrev_b32_e32 v9, 8, v21
	v_bfe_u32 v11, v21, 20, 11
	v_and_or_b32 v7, v9, s7, v7
	v_sub_u32_e32 v13, 0x3f1, v11
	v_or_b32_e32 v9, 0x1000, v7
	v_med3_i32 v13, v13, 0, 13
	v_lshrrev_b32_e32 v14, v13, v9
	v_lshlrev_b32_e32 v13, v13, v14
	v_cmp_ne_u32_e32 vcc, v13, v9
	v_cndmask_b32_e64 v9, 0, 1, vcc
	v_add_u32_e32 v11, 0xfffffc10, v11
	v_or_b32_e32 v9, v14, v9
	v_lshl_or_b32 v13, v11, 12, v7
	v_cmp_gt_i32_e32 vcc, 1, v11
	v_cndmask_b32_e32 v9, v13, v9, vcc
	v_and_b32_e32 v13, 7, v9
	v_cmp_lt_i32_e32 vcc, 5, v13
	v_cmp_eq_u32_e64 s[0:1], 3, v13
	ds_read2_b32 v[13:14], v124 offset0:68 offset1:203
	v_lshrrev_b32_e32 v9, 2, v9
	s_or_b64 vcc, s[0:1], vcc
	v_addc_co_u32_e32 v9, vcc, 0, v9, vcc
	s_waitcnt lgkmcnt(0)
	v_lshrrev_b32_e32 v20, 16, v13
	v_mul_f16_sdwa v18, v120, v20 dst_sel:DWORD dst_unused:UNUSED_PAD src0_sel:WORD_1 src1_sel:DWORD
	v_fma_f16 v18, v120, v13, v18
	v_cvt_f32_f16_e32 v18, v18
	v_cmp_gt_i32_e32 vcc, 31, v11
	v_cndmask_b32_e32 v9, v15, v9, vcc
	v_cmp_ne_u32_e32 vcc, 0, v7
	v_cvt_f64_f32_e32 v[18:19], v18
	v_cndmask_b32_e64 v7, 0, 1, vcc
	v_lshl_or_b32 v7, v7, 9, v15
	v_cmp_eq_u32_e32 vcc, s10, v11
	v_mul_f64 v[18:19], v[18:19], s[2:3]
	v_cndmask_b32_e32 v7, v9, v7, vcc
	v_lshrrev_b32_e32 v9, 16, v21
	v_and_or_b32 v7, v9, s11, v7
	v_and_b32_e32 v5, 0xffff, v5
	v_lshl_or_b32 v5, v7, 16, v5
	v_mov_b32_e32 v7, s4
	v_add_co_u32_e32 v16, vcc, s5, v16
	v_addc_co_u32_e32 v17, vcc, v17, v7, vcc
	global_store_dword v[16:17], v5, off
	v_and_or_b32 v5, v19, s6, v18
	v_cmp_ne_u32_e32 vcc, 0, v5
	v_cndmask_b32_e64 v5, 0, 1, vcc
	v_lshrrev_b32_e32 v7, 8, v19
	v_bfe_u32 v9, v19, 20, 11
	v_mul_f16_sdwa v13, v120, v13 dst_sel:DWORD dst_unused:UNUSED_PAD src0_sel:WORD_1 src1_sel:DWORD
	v_and_or_b32 v5, v7, s7, v5
	v_sub_u32_e32 v11, 0x3f1, v9
	v_fma_f16 v13, v120, v20, -v13
	v_or_b32_e32 v7, 0x1000, v5
	v_med3_i32 v11, v11, 0, 13
	v_cvt_f32_f16_e32 v13, v13
	v_lshrrev_b32_e32 v18, v11, v7
	v_lshlrev_b32_e32 v11, v11, v18
	v_cmp_ne_u32_e32 vcc, v11, v7
	v_cndmask_b32_e64 v7, 0, 1, vcc
	v_add_u32_e32 v9, 0xfffffc10, v9
	v_cvt_f64_f32_e32 v[20:21], v13
	v_or_b32_e32 v7, v18, v7
	v_lshl_or_b32 v11, v9, 12, v5
	v_cmp_gt_i32_e32 vcc, 1, v9
	v_cndmask_b32_e32 v7, v11, v7, vcc
	v_and_b32_e32 v11, 7, v7
	v_cmp_lt_i32_e32 vcc, 5, v11
	v_cmp_eq_u32_e64 s[0:1], 3, v11
	v_mul_f64 v[20:21], v[20:21], s[2:3]
	v_lshrrev_b32_e32 v7, 2, v7
	s_or_b64 vcc, s[0:1], vcc
	v_addc_co_u32_e32 v7, vcc, 0, v7, vcc
	v_cmp_gt_i32_e32 vcc, 31, v9
	v_cndmask_b32_e32 v7, v15, v7, vcc
	v_cmp_ne_u32_e32 vcc, 0, v5
	v_cndmask_b32_e64 v5, 0, 1, vcc
	v_lshl_or_b32 v5, v5, 9, v15
	v_cmp_eq_u32_e32 vcc, s10, v9
	v_cndmask_b32_e32 v5, v7, v5, vcc
	v_lshrrev_b32_e32 v7, 16, v19
	v_and_or_b32 v5, v7, s11, v5
	v_and_or_b32 v7, v21, s6, v20
	v_cmp_ne_u32_e32 vcc, 0, v7
	v_cndmask_b32_e64 v7, 0, 1, vcc
	v_lshrrev_b32_e32 v9, 8, v21
	v_bfe_u32 v11, v21, 20, 11
	v_and_or_b32 v7, v9, s7, v7
	v_sub_u32_e32 v13, 0x3f1, v11
	v_or_b32_e32 v9, 0x1000, v7
	v_med3_i32 v13, v13, 0, 13
	v_lshrrev_b32_e32 v18, v13, v9
	v_lshlrev_b32_e32 v13, v13, v18
	v_cmp_ne_u32_e32 vcc, v13, v9
	v_cndmask_b32_e64 v9, 0, 1, vcc
	v_add_u32_e32 v11, 0xfffffc10, v11
	v_or_b32_e32 v9, v18, v9
	v_lshl_or_b32 v13, v11, 12, v7
	v_cmp_gt_i32_e32 vcc, 1, v11
	v_cndmask_b32_e32 v9, v13, v9, vcc
	v_and_b32_e32 v13, 7, v9
	v_cmp_lt_i32_e32 vcc, 5, v13
	v_cmp_eq_u32_e64 s[0:1], 3, v13
	v_lshrrev_b32_e32 v13, 16, v0
	v_mul_f16_sdwa v18, v118, v13 dst_sel:DWORD dst_unused:UNUSED_PAD src0_sel:WORD_1 src1_sel:DWORD
	v_fma_f16 v18, v118, v0, v18
	v_cvt_f32_f16_e32 v18, v18
	v_lshrrev_b32_e32 v9, 2, v9
	s_or_b64 vcc, s[0:1], vcc
	v_addc_co_u32_e32 v9, vcc, 0, v9, vcc
	v_cvt_f64_f32_e32 v[18:19], v18
	v_cmp_gt_i32_e32 vcc, 31, v11
	v_cndmask_b32_e32 v9, v15, v9, vcc
	v_cmp_ne_u32_e32 vcc, 0, v7
	v_mul_f64 v[18:19], v[18:19], s[2:3]
	v_cndmask_b32_e64 v7, 0, 1, vcc
	v_lshl_or_b32 v7, v7, 9, v15
	v_cmp_eq_u32_e32 vcc, s10, v11
	v_cndmask_b32_e32 v7, v9, v7, vcc
	v_lshrrev_b32_e32 v9, 16, v21
	v_and_or_b32 v7, v9, s11, v7
	v_and_b32_e32 v5, 0xffff, v5
	v_lshl_or_b32 v5, v7, 16, v5
	v_mov_b32_e32 v7, s4
	v_add_co_u32_e32 v16, vcc, s5, v16
	v_addc_co_u32_e32 v17, vcc, v17, v7, vcc
	global_store_dword v[16:17], v5, off
	v_and_or_b32 v5, v19, s6, v18
	v_cmp_ne_u32_e32 vcc, 0, v5
	v_cndmask_b32_e64 v5, 0, 1, vcc
	v_lshrrev_b32_e32 v7, 8, v19
	v_bfe_u32 v9, v19, 20, 11
	v_mul_f16_sdwa v0, v118, v0 dst_sel:DWORD dst_unused:UNUSED_PAD src0_sel:WORD_1 src1_sel:DWORD
	v_and_or_b32 v5, v7, s7, v5
	v_sub_u32_e32 v11, 0x3f1, v9
	v_fma_f16 v0, v118, v13, -v0
	v_or_b32_e32 v7, 0x1000, v5
	v_med3_i32 v11, v11, 0, 13
	v_cvt_f32_f16_e32 v0, v0
	v_lshrrev_b32_e32 v18, v11, v7
	v_lshlrev_b32_e32 v11, v11, v18
	v_cmp_ne_u32_e32 vcc, v11, v7
	v_cndmask_b32_e64 v7, 0, 1, vcc
	v_add_u32_e32 v9, 0xfffffc10, v9
	v_cvt_f64_f32_e32 v[20:21], v0
	v_or_b32_e32 v7, v18, v7
	v_lshl_or_b32 v11, v9, 12, v5
	v_cmp_gt_i32_e32 vcc, 1, v9
	v_cndmask_b32_e32 v7, v11, v7, vcc
	v_and_b32_e32 v11, 7, v7
	v_cmp_lt_i32_e32 vcc, 5, v11
	v_cmp_eq_u32_e64 s[0:1], 3, v11
	v_mul_f64 v[20:21], v[20:21], s[2:3]
	v_lshrrev_b32_e32 v7, 2, v7
	s_or_b64 vcc, s[0:1], vcc
	v_addc_co_u32_e32 v0, vcc, 0, v7, vcc
	v_cmp_gt_i32_e32 vcc, 31, v9
	v_cndmask_b32_e32 v0, v15, v0, vcc
	v_cmp_ne_u32_e32 vcc, 0, v5
	v_cndmask_b32_e64 v5, 0, 1, vcc
	v_lshl_or_b32 v5, v5, 9, v15
	v_cmp_eq_u32_e32 vcc, s10, v9
	v_cndmask_b32_e32 v0, v0, v5, vcc
	v_lshrrev_b32_e32 v5, 16, v19
	v_and_or_b32 v0, v5, s11, v0
	v_and_or_b32 v5, v21, s6, v20
	v_cmp_ne_u32_e32 vcc, 0, v5
	v_cndmask_b32_e64 v5, 0, 1, vcc
	v_lshrrev_b32_e32 v7, 8, v21
	v_bfe_u32 v9, v21, 20, 11
	v_and_or_b32 v5, v7, s7, v5
	v_sub_u32_e32 v11, 0x3f1, v9
	v_or_b32_e32 v7, 0x1000, v5
	v_med3_i32 v11, v11, 0, 13
	v_lshrrev_b32_e32 v13, v11, v7
	v_lshlrev_b32_e32 v11, v11, v13
	v_cmp_ne_u32_e32 vcc, v11, v7
	v_cndmask_b32_e64 v7, 0, 1, vcc
	v_add_u32_e32 v9, 0xfffffc10, v9
	v_or_b32_e32 v7, v13, v7
	v_lshl_or_b32 v11, v9, 12, v5
	v_cmp_gt_i32_e32 vcc, 1, v9
	v_cndmask_b32_e32 v7, v11, v7, vcc
	v_and_b32_e32 v11, 7, v7
	v_cmp_lt_i32_e32 vcc, 5, v11
	v_cmp_eq_u32_e64 s[0:1], 3, v11
	v_lshrrev_b32_e32 v11, 16, v6
	v_mul_f16_sdwa v13, v117, v11 dst_sel:DWORD dst_unused:UNUSED_PAD src0_sel:WORD_1 src1_sel:DWORD
	v_fma_f16 v13, v117, v6, v13
	v_cvt_f32_f16_e32 v13, v13
	v_lshrrev_b32_e32 v7, 2, v7
	s_or_b64 vcc, s[0:1], vcc
	v_addc_co_u32_e32 v7, vcc, 0, v7, vcc
	v_cvt_f64_f32_e32 v[18:19], v13
	v_cmp_gt_i32_e32 vcc, 31, v9
	v_cndmask_b32_e32 v7, v15, v7, vcc
	v_cmp_ne_u32_e32 vcc, 0, v5
	v_mul_f64 v[18:19], v[18:19], s[2:3]
	v_cndmask_b32_e64 v5, 0, 1, vcc
	v_mad_u64_u32 v[16:17], s[0:1], s8, v119, v[16:17]
	v_lshl_or_b32 v5, v5, 9, v15
	v_cmp_eq_u32_e32 vcc, s10, v9
	v_cndmask_b32_e32 v5, v7, v5, vcc
	v_lshrrev_b32_e32 v7, 16, v21
	v_and_or_b32 v5, v7, s11, v5
	v_and_b32_e32 v0, 0xffff, v0
	v_lshl_or_b32 v0, v5, 16, v0
	v_add_u32_e32 v17, s9, v17
	global_store_dword v[16:17], v0, off
	v_and_or_b32 v0, v19, s6, v18
	v_cmp_ne_u32_e32 vcc, 0, v0
	v_cndmask_b32_e64 v0, 0, 1, vcc
	v_lshrrev_b32_e32 v5, 8, v19
	v_bfe_u32 v7, v19, 20, 11
	v_and_or_b32 v0, v5, s7, v0
	v_sub_u32_e32 v9, 0x3f1, v7
	v_or_b32_e32 v5, 0x1000, v0
	v_med3_i32 v9, v9, 0, 13
	v_lshrrev_b32_e32 v13, v9, v5
	v_lshlrev_b32_e32 v9, v9, v13
	v_mul_f16_sdwa v6, v117, v6 dst_sel:DWORD dst_unused:UNUSED_PAD src0_sel:WORD_1 src1_sel:DWORD
	v_cmp_ne_u32_e32 vcc, v9, v5
	v_fma_f16 v6, v117, v11, -v6
	v_cndmask_b32_e64 v5, 0, 1, vcc
	v_add_u32_e32 v7, 0xfffffc10, v7
	v_cvt_f32_f16_e32 v6, v6
	v_or_b32_e32 v5, v13, v5
	v_lshl_or_b32 v9, v7, 12, v0
	v_cmp_gt_i32_e32 vcc, 1, v7
	v_cndmask_b32_e32 v5, v9, v5, vcc
	v_and_b32_e32 v9, 7, v5
	v_cmp_lt_i32_e32 vcc, 5, v9
	v_cmp_eq_u32_e64 s[0:1], 3, v9
	v_lshrrev_b32_e32 v9, 2, v5
	v_cvt_f64_f32_e32 v[5:6], v6
	s_or_b64 vcc, s[0:1], vcc
	v_addc_co_u32_e32 v9, vcc, 0, v9, vcc
	v_mul_f64 v[5:6], v[5:6], s[2:3]
	v_cmp_gt_i32_e32 vcc, 31, v7
	v_cndmask_b32_e32 v9, v15, v9, vcc
	v_cmp_ne_u32_e32 vcc, 0, v0
	v_cndmask_b32_e64 v0, 0, 1, vcc
	v_lshl_or_b32 v0, v0, 9, v15
	v_cmp_eq_u32_e32 vcc, s10, v7
	v_cndmask_b32_e32 v0, v9, v0, vcc
	v_and_or_b32 v5, v6, s6, v5
	v_lshrrev_b32_e32 v7, 16, v19
	v_cmp_ne_u32_e32 vcc, 0, v5
	v_and_or_b32 v0, v7, s11, v0
	v_cndmask_b32_e64 v5, 0, 1, vcc
	v_lshrrev_b32_e32 v7, 8, v6
	v_bfe_u32 v9, v6, 20, 11
	v_and_or_b32 v5, v7, s7, v5
	v_sub_u32_e32 v11, 0x3f1, v9
	v_or_b32_e32 v7, 0x1000, v5
	v_med3_i32 v11, v11, 0, 13
	v_lshrrev_b32_e32 v13, v11, v7
	v_lshlrev_b32_e32 v11, v11, v13
	v_cmp_ne_u32_e32 vcc, v11, v7
	v_cndmask_b32_e64 v7, 0, 1, vcc
	v_add_u32_e32 v9, 0xfffffc10, v9
	v_or_b32_e32 v7, v13, v7
	v_lshl_or_b32 v11, v9, 12, v5
	v_cmp_gt_i32_e32 vcc, 1, v9
	v_cndmask_b32_e32 v7, v11, v7, vcc
	v_and_b32_e32 v11, 7, v7
	v_cmp_lt_i32_e32 vcc, 5, v11
	v_cmp_eq_u32_e64 s[0:1], 3, v11
	v_lshrrev_b32_e32 v11, 16, v1
	v_mul_f16_sdwa v13, v116, v11 dst_sel:DWORD dst_unused:UNUSED_PAD src0_sel:WORD_1 src1_sel:DWORD
	v_fma_f16 v13, v116, v1, v13
	v_cvt_f32_f16_e32 v13, v13
	v_lshrrev_b32_e32 v7, 2, v7
	s_or_b64 vcc, s[0:1], vcc
	v_addc_co_u32_e32 v7, vcc, 0, v7, vcc
	v_cmp_gt_i32_e32 vcc, 31, v9
	v_cndmask_b32_e32 v7, v15, v7, vcc
	v_cmp_ne_u32_e32 vcc, 0, v5
	v_cvt_f64_f32_e32 v[18:19], v13
	v_cndmask_b32_e64 v5, 0, 1, vcc
	v_lshl_or_b32 v5, v5, 9, v15
	v_cmp_eq_u32_e32 vcc, s10, v9
	v_cndmask_b32_e32 v5, v7, v5, vcc
	v_lshrrev_b32_e32 v6, 16, v6
	v_and_or_b32 v7, v6, s11, v5
	v_mul_f64 v[5:6], v[18:19], s[2:3]
	v_and_b32_e32 v0, 0xffff, v0
	v_lshl_or_b32 v0, v7, 16, v0
	v_mov_b32_e32 v7, s4
	v_add_co_u32_e32 v16, vcc, s5, v16
	v_addc_co_u32_e32 v17, vcc, v17, v7, vcc
	global_store_dword v[16:17], v0, off
	v_and_or_b32 v0, v6, s6, v5
	v_cmp_ne_u32_e32 vcc, 0, v0
	v_cndmask_b32_e64 v0, 0, 1, vcc
	v_lshrrev_b32_e32 v5, 8, v6
	v_bfe_u32 v7, v6, 20, 11
	v_and_or_b32 v5, v5, s7, v0
	v_sub_u32_e32 v9, 0x3f1, v7
	v_or_b32_e32 v0, 0x1000, v5
	v_med3_i32 v9, v9, 0, 13
	v_lshrrev_b32_e32 v13, v9, v0
	v_lshlrev_b32_e32 v9, v9, v13
	v_mul_f16_sdwa v1, v116, v1 dst_sel:DWORD dst_unused:UNUSED_PAD src0_sel:WORD_1 src1_sel:DWORD
	v_cmp_ne_u32_e32 vcc, v9, v0
	v_fma_f16 v1, v116, v11, -v1
	v_cndmask_b32_e64 v0, 0, 1, vcc
	v_add_u32_e32 v7, 0xfffffc10, v7
	v_cvt_f32_f16_e32 v1, v1
	v_or_b32_e32 v0, v13, v0
	v_lshl_or_b32 v9, v7, 12, v5
	v_cmp_gt_i32_e32 vcc, 1, v7
	v_cndmask_b32_e32 v0, v9, v0, vcc
	v_and_b32_e32 v9, 7, v0
	v_cmp_lt_i32_e32 vcc, 5, v9
	v_cmp_eq_u32_e64 s[0:1], 3, v9
	v_lshrrev_b32_e32 v9, 2, v0
	v_cvt_f64_f32_e32 v[0:1], v1
	s_or_b64 vcc, s[0:1], vcc
	v_addc_co_u32_e32 v9, vcc, 0, v9, vcc
	v_mul_f64 v[0:1], v[0:1], s[2:3]
	v_cmp_gt_i32_e32 vcc, 31, v7
	v_cndmask_b32_e32 v9, v15, v9, vcc
	v_cmp_ne_u32_e32 vcc, 0, v5
	v_cndmask_b32_e64 v5, 0, 1, vcc
	v_lshl_or_b32 v5, v5, 9, v15
	v_cmp_eq_u32_e32 vcc, s10, v7
	v_cndmask_b32_e32 v5, v9, v5, vcc
	v_and_or_b32 v0, v1, s6, v0
	v_lshrrev_b32_e32 v6, 16, v6
	v_cmp_ne_u32_e32 vcc, 0, v0
	v_and_or_b32 v7, v6, s11, v5
	v_cndmask_b32_e64 v0, 0, 1, vcc
	v_lshrrev_b32_e32 v5, 8, v1
	v_bfe_u32 v6, v1, 20, 11
	v_and_or_b32 v0, v5, s7, v0
	v_sub_u32_e32 v9, 0x3f1, v6
	v_or_b32_e32 v5, 0x1000, v0
	v_med3_i32 v9, v9, 0, 13
	v_lshrrev_b32_e32 v11, v9, v5
	v_lshlrev_b32_e32 v9, v9, v11
	v_cmp_ne_u32_e32 vcc, v9, v5
	v_cndmask_b32_e64 v5, 0, 1, vcc
	v_add_u32_e32 v6, 0xfffffc10, v6
	v_or_b32_e32 v5, v11, v5
	v_lshl_or_b32 v9, v6, 12, v0
	v_cmp_gt_i32_e32 vcc, 1, v6
	v_cndmask_b32_e32 v5, v9, v5, vcc
	v_and_b32_e32 v9, 7, v5
	v_cmp_lt_i32_e32 vcc, 5, v9
	v_cmp_eq_u32_e64 s[0:1], 3, v9
	v_lshrrev_b32_e32 v9, 16, v8
	v_lshrrev_b32_e32 v5, 2, v5
	s_or_b64 vcc, s[0:1], vcc
	v_mul_f16_sdwa v11, v115, v9 dst_sel:DWORD dst_unused:UNUSED_PAD src0_sel:WORD_1 src1_sel:DWORD
	v_addc_co_u32_e32 v5, vcc, 0, v5, vcc
	v_fma_f16 v11, v115, v8, v11
	v_cmp_gt_i32_e32 vcc, 31, v6
	v_cvt_f32_f16_e32 v11, v11
	v_cndmask_b32_e32 v5, v15, v5, vcc
	v_cmp_ne_u32_e32 vcc, 0, v0
	v_cndmask_b32_e64 v0, 0, 1, vcc
	v_lshl_or_b32 v0, v0, 9, v15
	v_cmp_eq_u32_e32 vcc, s10, v6
	v_cndmask_b32_e32 v0, v5, v0, vcc
	v_cvt_f64_f32_e32 v[5:6], v11
	v_lshrrev_b32_e32 v1, 16, v1
	v_and_or_b32 v11, v1, s11, v0
	v_and_b32_e32 v7, 0xffff, v7
	v_mul_f64 v[0:1], v[5:6], s[2:3]
	v_mov_b32_e32 v6, s4
	v_add_co_u32_e32 v5, vcc, s5, v16
	v_addc_co_u32_e32 v6, vcc, v17, v6, vcc
	v_lshl_or_b32 v7, v11, 16, v7
	global_store_dword v[5:6], v7, off
	v_and_or_b32 v0, v1, s6, v0
	v_cmp_ne_u32_e32 vcc, 0, v0
	v_cndmask_b32_e64 v0, 0, 1, vcc
	v_lshrrev_b32_e32 v7, 8, v1
	v_bfe_u32 v11, v1, 20, 11
	v_and_or_b32 v0, v7, s7, v0
	v_sub_u32_e32 v13, 0x3f1, v11
	v_or_b32_e32 v7, 0x1000, v0
	v_med3_i32 v13, v13, 0, 13
	v_lshrrev_b32_e32 v16, v13, v7
	v_mul_f16_sdwa v8, v115, v8 dst_sel:DWORD dst_unused:UNUSED_PAD src0_sel:WORD_1 src1_sel:DWORD
	v_lshlrev_b32_e32 v13, v13, v16
	v_fma_f16 v8, v115, v9, -v8
	v_cmp_ne_u32_e32 vcc, v13, v7
	v_cvt_f32_f16_e32 v8, v8
	v_cndmask_b32_e64 v7, 0, 1, vcc
	v_add_u32_e32 v11, 0xfffffc10, v11
	v_or_b32_e32 v7, v16, v7
	v_lshl_or_b32 v13, v11, 12, v0
	v_cmp_gt_i32_e32 vcc, 1, v11
	v_cndmask_b32_e32 v7, v13, v7, vcc
	v_and_b32_e32 v13, 7, v7
	v_lshrrev_b32_e32 v9, 2, v7
	v_cvt_f64_f32_e32 v[7:8], v8
	v_cmp_lt_i32_e32 vcc, 5, v13
	v_cmp_eq_u32_e64 s[0:1], 3, v13
	s_or_b64 vcc, s[0:1], vcc
	v_mul_f64 v[7:8], v[7:8], s[2:3]
	v_addc_co_u32_e32 v9, vcc, 0, v9, vcc
	v_cmp_gt_i32_e32 vcc, 31, v11
	v_cndmask_b32_e32 v9, v15, v9, vcc
	v_cmp_ne_u32_e32 vcc, 0, v0
	v_cndmask_b32_e64 v0, 0, 1, vcc
	v_lshl_or_b32 v0, v0, 9, v15
	v_cmp_eq_u32_e32 vcc, s10, v11
	v_cndmask_b32_e32 v0, v9, v0, vcc
	v_lshrrev_b32_e32 v1, 16, v1
	v_and_or_b32 v9, v1, s11, v0
	v_and_or_b32 v0, v8, s6, v7
	v_cmp_ne_u32_e32 vcc, 0, v0
	v_cndmask_b32_e64 v0, 0, 1, vcc
	v_lshrrev_b32_e32 v1, 8, v8
	v_bfe_u32 v7, v8, 20, 11
	v_and_or_b32 v0, v1, s7, v0
	v_sub_u32_e32 v11, 0x3f1, v7
	v_or_b32_e32 v1, 0x1000, v0
	v_med3_i32 v11, v11, 0, 13
	v_lshrrev_b32_e32 v13, v11, v1
	v_lshlrev_b32_e32 v11, v11, v13
	v_cmp_ne_u32_e32 vcc, v11, v1
	v_cndmask_b32_e64 v1, 0, 1, vcc
	v_add_u32_e32 v7, 0xfffffc10, v7
	v_or_b32_e32 v1, v13, v1
	v_lshl_or_b32 v11, v7, 12, v0
	v_cmp_gt_i32_e32 vcc, 1, v7
	v_cndmask_b32_e32 v1, v11, v1, vcc
	v_and_b32_e32 v11, 7, v1
	v_cmp_lt_i32_e32 vcc, 5, v11
	v_cmp_eq_u32_e64 s[0:1], 3, v11
	v_lshrrev_b32_e32 v11, 16, v2
	v_lshrrev_b32_e32 v1, 2, v1
	s_or_b64 vcc, s[0:1], vcc
	v_mul_f16_sdwa v13, v114, v11 dst_sel:DWORD dst_unused:UNUSED_PAD src0_sel:WORD_1 src1_sel:DWORD
	v_addc_co_u32_e32 v1, vcc, 0, v1, vcc
	v_fma_f16 v13, v114, v2, v13
	v_cmp_gt_i32_e32 vcc, 31, v7
	v_cvt_f32_f16_e32 v13, v13
	v_cndmask_b32_e32 v1, v15, v1, vcc
	v_cmp_ne_u32_e32 vcc, 0, v0
	v_cndmask_b32_e64 v0, 0, 1, vcc
	v_lshl_or_b32 v0, v0, 9, v15
	v_cmp_eq_u32_e32 vcc, s10, v7
	v_cndmask_b32_e32 v7, v1, v0, vcc
	v_cvt_f64_f32_e32 v[0:1], v13
	v_lshrrev_b32_e32 v8, 16, v8
	v_and_or_b32 v7, v8, s11, v7
	v_and_b32_e32 v8, 0xffff, v9
	v_mul_f64 v[0:1], v[0:1], s[2:3]
	v_lshl_or_b32 v7, v7, 16, v8
	v_mov_b32_e32 v8, s4
	v_add_co_u32_e32 v5, vcc, s5, v5
	v_addc_co_u32_e32 v6, vcc, v6, v8, vcc
	global_store_dword v[5:6], v7, off
	v_and_or_b32 v0, v1, s6, v0
	v_cmp_ne_u32_e32 vcc, 0, v0
	v_cndmask_b32_e64 v0, 0, 1, vcc
	v_lshrrev_b32_e32 v7, 8, v1
	v_bfe_u32 v8, v1, 20, 11
	v_and_or_b32 v0, v7, s7, v0
	v_sub_u32_e32 v9, 0x3f1, v8
	v_or_b32_e32 v7, 0x1000, v0
	v_med3_i32 v9, v9, 0, 13
	v_lshrrev_b32_e32 v13, v9, v7
	v_lshlrev_b32_e32 v9, v9, v13
	v_mul_f16_sdwa v2, v114, v2 dst_sel:DWORD dst_unused:UNUSED_PAD src0_sel:WORD_1 src1_sel:DWORD
	v_cmp_ne_u32_e32 vcc, v9, v7
	v_fma_f16 v2, v114, v11, -v2
	v_cndmask_b32_e64 v7, 0, 1, vcc
	v_add_u32_e32 v9, 0xfffffc10, v8
	v_cvt_f32_f16_e32 v2, v2
	v_or_b32_e32 v7, v13, v7
	v_lshl_or_b32 v8, v9, 12, v0
	v_cmp_gt_i32_e32 vcc, 1, v9
	v_cndmask_b32_e32 v7, v8, v7, vcc
	v_and_b32_e32 v8, 7, v7
	v_cmp_lt_i32_e32 vcc, 5, v8
	v_cmp_eq_u32_e64 s[0:1], 3, v8
	v_lshrrev_b32_e32 v11, 2, v7
	v_cvt_f64_f32_e32 v[7:8], v2
	s_or_b64 vcc, s[0:1], vcc
	v_addc_co_u32_e32 v2, vcc, 0, v11, vcc
	v_mul_f64 v[7:8], v[7:8], s[2:3]
	v_cmp_gt_i32_e32 vcc, 31, v9
	v_cndmask_b32_e32 v2, v15, v2, vcc
	v_cmp_ne_u32_e32 vcc, 0, v0
	v_cndmask_b32_e64 v0, 0, 1, vcc
	v_lshl_or_b32 v0, v0, 9, v15
	v_cmp_eq_u32_e32 vcc, s10, v9
	v_cndmask_b32_e32 v0, v2, v0, vcc
	v_lshrrev_b32_e32 v1, 16, v1
	v_and_or_b32 v2, v1, s11, v0
	v_and_or_b32 v0, v8, s6, v7
	v_cmp_ne_u32_e32 vcc, 0, v0
	v_cndmask_b32_e64 v0, 0, 1, vcc
	v_lshrrev_b32_e32 v1, 8, v8
	v_bfe_u32 v7, v8, 20, 11
	v_and_or_b32 v0, v1, s7, v0
	v_sub_u32_e32 v9, 0x3f1, v7
	v_or_b32_e32 v1, 0x1000, v0
	v_med3_i32 v9, v9, 0, 13
	v_lshrrev_b32_e32 v11, v9, v1
	v_lshlrev_b32_e32 v9, v9, v11
	v_cmp_ne_u32_e32 vcc, v9, v1
	v_cndmask_b32_e64 v1, 0, 1, vcc
	v_add_u32_e32 v7, 0xfffffc10, v7
	v_or_b32_e32 v1, v11, v1
	v_lshl_or_b32 v9, v7, 12, v0
	v_cmp_gt_i32_e32 vcc, 1, v7
	v_cndmask_b32_e32 v1, v9, v1, vcc
	v_and_b32_e32 v9, 7, v1
	v_cmp_lt_i32_e32 vcc, 5, v9
	v_cmp_eq_u32_e64 s[0:1], 3, v9
	v_lshrrev_b32_e32 v9, 16, v10
	v_lshrrev_b32_e32 v1, 2, v1
	s_or_b64 vcc, s[0:1], vcc
	v_mul_f16_sdwa v11, v113, v9 dst_sel:DWORD dst_unused:UNUSED_PAD src0_sel:WORD_1 src1_sel:DWORD
	v_addc_co_u32_e32 v1, vcc, 0, v1, vcc
	v_fma_f16 v11, v113, v10, v11
	v_cmp_gt_i32_e32 vcc, 31, v7
	v_cvt_f32_f16_e32 v11, v11
	v_cndmask_b32_e32 v1, v15, v1, vcc
	v_cmp_ne_u32_e32 vcc, 0, v0
	v_cndmask_b32_e64 v0, 0, 1, vcc
	v_lshl_or_b32 v0, v0, 9, v15
	v_cmp_eq_u32_e32 vcc, s10, v7
	v_cndmask_b32_e32 v7, v1, v0, vcc
	v_cvt_f64_f32_e32 v[0:1], v11
	v_lshrrev_b32_e32 v8, 16, v8
	v_and_or_b32 v7, v8, s11, v7
	v_and_b32_e32 v2, 0xffff, v2
	v_mul_f64 v[0:1], v[0:1], s[2:3]
	v_lshl_or_b32 v2, v7, 16, v2
	v_mov_b32_e32 v7, s4
	v_add_co_u32_e32 v5, vcc, s5, v5
	v_addc_co_u32_e32 v6, vcc, v6, v7, vcc
	global_store_dword v[5:6], v2, off
	v_and_or_b32 v0, v1, s6, v0
	v_cmp_ne_u32_e32 vcc, 0, v0
	v_cndmask_b32_e64 v0, 0, 1, vcc
	v_lshrrev_b32_e32 v2, 8, v1
	v_bfe_u32 v7, v1, 20, 11
	v_and_or_b32 v0, v2, s7, v0
	v_sub_u32_e32 v8, 0x3f1, v7
	v_or_b32_e32 v2, 0x1000, v0
	v_med3_i32 v8, v8, 0, 13
	v_lshrrev_b32_e32 v11, v8, v2
	v_lshlrev_b32_e32 v8, v8, v11
	v_cmp_ne_u32_e32 vcc, v8, v2
	v_mul_f16_sdwa v8, v113, v10 dst_sel:DWORD dst_unused:UNUSED_PAD src0_sel:WORD_1 src1_sel:DWORD
	v_cndmask_b32_e64 v2, 0, 1, vcc
	v_fma_f16 v8, v113, v9, -v8
	v_or_b32_e32 v2, v11, v2
	v_add_u32_e32 v11, 0xfffffc10, v7
	v_cvt_f32_f16_e32 v8, v8
	v_lshl_or_b32 v7, v11, 12, v0
	v_cmp_gt_i32_e32 vcc, 1, v11
	v_cndmask_b32_e32 v2, v7, v2, vcc
	v_and_b32_e32 v7, 7, v2
	v_cmp_lt_i32_e32 vcc, 5, v7
	v_cmp_eq_u32_e64 s[0:1], 3, v7
	v_cvt_f64_f32_e32 v[7:8], v8
	v_lshrrev_b32_e32 v2, 2, v2
	s_or_b64 vcc, s[0:1], vcc
	v_addc_co_u32_e32 v2, vcc, 0, v2, vcc
	v_mul_f64 v[7:8], v[7:8], s[2:3]
	v_cmp_gt_i32_e32 vcc, 31, v11
	v_cndmask_b32_e32 v2, v15, v2, vcc
	v_cmp_ne_u32_e32 vcc, 0, v0
	v_cndmask_b32_e64 v0, 0, 1, vcc
	v_lshl_or_b32 v0, v0, 9, v15
	v_cmp_eq_u32_e32 vcc, s10, v11
	v_cndmask_b32_e32 v0, v2, v0, vcc
	v_lshrrev_b32_e32 v1, 16, v1
	v_and_or_b32 v2, v1, s11, v0
	v_and_or_b32 v0, v8, s6, v7
	v_cmp_ne_u32_e32 vcc, 0, v0
	v_cndmask_b32_e64 v0, 0, 1, vcc
	v_lshrrev_b32_e32 v1, 8, v8
	v_bfe_u32 v7, v8, 20, 11
	v_and_or_b32 v0, v1, s7, v0
	v_sub_u32_e32 v9, 0x3f1, v7
	v_or_b32_e32 v1, 0x1000, v0
	v_med3_i32 v9, v9, 0, 13
	v_lshrrev_b32_e32 v10, v9, v1
	v_lshlrev_b32_e32 v9, v9, v10
	v_cmp_ne_u32_e32 vcc, v9, v1
	v_cndmask_b32_e64 v1, 0, 1, vcc
	v_add_u32_e32 v7, 0xfffffc10, v7
	v_or_b32_e32 v1, v10, v1
	v_lshl_or_b32 v9, v7, 12, v0
	v_cmp_gt_i32_e32 vcc, 1, v7
	v_cndmask_b32_e32 v1, v9, v1, vcc
	v_and_b32_e32 v9, 7, v1
	v_cmp_lt_i32_e32 vcc, 5, v9
	v_cmp_eq_u32_e64 s[0:1], 3, v9
	v_lshrrev_b32_e32 v9, 16, v3
	v_lshrrev_b32_e32 v1, 2, v1
	s_or_b64 vcc, s[0:1], vcc
	v_mul_f16_sdwa v10, v112, v9 dst_sel:DWORD dst_unused:UNUSED_PAD src0_sel:WORD_1 src1_sel:DWORD
	v_addc_co_u32_e32 v1, vcc, 0, v1, vcc
	v_fma_f16 v10, v112, v3, v10
	v_cmp_gt_i32_e32 vcc, 31, v7
	v_cvt_f32_f16_e32 v10, v10
	v_cndmask_b32_e32 v1, v15, v1, vcc
	v_cmp_ne_u32_e32 vcc, 0, v0
	v_cndmask_b32_e64 v0, 0, 1, vcc
	v_lshl_or_b32 v0, v0, 9, v15
	v_cmp_eq_u32_e32 vcc, s10, v7
	v_cndmask_b32_e32 v7, v1, v0, vcc
	v_cvt_f64_f32_e32 v[0:1], v10
	v_lshrrev_b32_e32 v8, 16, v8
	v_and_or_b32 v7, v8, s11, v7
	v_and_b32_e32 v2, 0xffff, v2
	v_mul_f64 v[0:1], v[0:1], s[2:3]
	v_lshl_or_b32 v2, v7, 16, v2
	v_mov_b32_e32 v7, s4
	v_add_co_u32_e32 v5, vcc, s5, v5
	v_addc_co_u32_e32 v6, vcc, v6, v7, vcc
	global_store_dword v[5:6], v2, off
	v_and_or_b32 v0, v1, s6, v0
	v_cmp_ne_u32_e32 vcc, 0, v0
	v_cndmask_b32_e64 v0, 0, 1, vcc
	v_lshrrev_b32_e32 v2, 8, v1
	v_bfe_u32 v7, v1, 20, 11
	v_and_or_b32 v0, v2, s7, v0
	v_sub_u32_e32 v8, 0x3f1, v7
	v_or_b32_e32 v2, 0x1000, v0
	v_med3_i32 v8, v8, 0, 13
	v_lshrrev_b32_e32 v10, v8, v2
	v_lshlrev_b32_e32 v8, v8, v10
	v_mul_f16_sdwa v3, v112, v3 dst_sel:DWORD dst_unused:UNUSED_PAD src0_sel:WORD_1 src1_sel:DWORD
	v_cmp_ne_u32_e32 vcc, v8, v2
	v_fma_f16 v3, v112, v9, -v3
	v_cndmask_b32_e64 v2, 0, 1, vcc
	v_add_u32_e32 v7, 0xfffffc10, v7
	v_cvt_f32_f16_e32 v3, v3
	v_or_b32_e32 v2, v10, v2
	v_lshl_or_b32 v8, v7, 12, v0
	v_cmp_gt_i32_e32 vcc, 1, v7
	v_cndmask_b32_e32 v2, v8, v2, vcc
	v_and_b32_e32 v8, 7, v2
	v_cmp_lt_i32_e32 vcc, 5, v8
	v_cmp_eq_u32_e64 s[0:1], 3, v8
	v_lshrrev_b32_e32 v8, 2, v2
	v_cvt_f64_f32_e32 v[2:3], v3
	s_or_b64 vcc, s[0:1], vcc
	v_addc_co_u32_e32 v8, vcc, 0, v8, vcc
	v_mul_f64 v[2:3], v[2:3], s[2:3]
	v_cmp_gt_i32_e32 vcc, 31, v7
	v_cndmask_b32_e32 v8, v15, v8, vcc
	v_cmp_ne_u32_e32 vcc, 0, v0
	v_cndmask_b32_e64 v0, 0, 1, vcc
	v_lshl_or_b32 v0, v0, 9, v15
	v_cmp_eq_u32_e32 vcc, s10, v7
	v_cndmask_b32_e32 v0, v8, v0, vcc
	v_lshrrev_b32_e32 v1, 16, v1
	v_and_or_b32 v7, v1, s11, v0
	v_and_or_b32 v0, v3, s6, v2
	v_cmp_ne_u32_e32 vcc, 0, v0
	v_cndmask_b32_e64 v0, 0, 1, vcc
	v_lshrrev_b32_e32 v1, 8, v3
	v_bfe_u32 v2, v3, 20, 11
	v_and_or_b32 v0, v1, s7, v0
	v_sub_u32_e32 v8, 0x3f1, v2
	v_or_b32_e32 v1, 0x1000, v0
	v_med3_i32 v8, v8, 0, 13
	v_lshrrev_b32_e32 v9, v8, v1
	v_lshlrev_b32_e32 v8, v8, v9
	v_cmp_ne_u32_e32 vcc, v8, v1
	v_cndmask_b32_e64 v1, 0, 1, vcc
	v_add_u32_e32 v2, 0xfffffc10, v2
	v_or_b32_e32 v1, v9, v1
	v_lshl_or_b32 v8, v2, 12, v0
	v_cmp_gt_i32_e32 vcc, 1, v2
	v_cndmask_b32_e32 v1, v8, v1, vcc
	v_and_b32_e32 v8, 7, v1
	v_cmp_lt_i32_e32 vcc, 5, v8
	v_cmp_eq_u32_e64 s[0:1], 3, v8
	v_lshrrev_b32_e32 v8, 16, v12
	v_lshrrev_b32_e32 v1, 2, v1
	s_or_b64 vcc, s[0:1], vcc
	v_mul_f16_sdwa v9, v111, v8 dst_sel:DWORD dst_unused:UNUSED_PAD src0_sel:WORD_1 src1_sel:DWORD
	v_addc_co_u32_e32 v1, vcc, 0, v1, vcc
	v_fma_f16 v9, v111, v12, v9
	v_cmp_gt_i32_e32 vcc, 31, v2
	v_cvt_f32_f16_e32 v9, v9
	v_cndmask_b32_e32 v1, v15, v1, vcc
	v_cmp_ne_u32_e32 vcc, 0, v0
	v_cndmask_b32_e64 v0, 0, 1, vcc
	v_lshl_or_b32 v0, v0, 9, v15
	v_cmp_eq_u32_e32 vcc, s10, v2
	v_cndmask_b32_e32 v2, v1, v0, vcc
	v_cvt_f64_f32_e32 v[0:1], v9
	v_lshrrev_b32_e32 v3, 16, v3
	v_and_or_b32 v2, v3, s11, v2
	v_and_b32_e32 v3, 0xffff, v7
	v_mul_f64 v[0:1], v[0:1], s[2:3]
	v_lshl_or_b32 v7, v2, 16, v3
	v_mov_b32_e32 v3, s4
	v_add_co_u32_e32 v2, vcc, s5, v5
	v_addc_co_u32_e32 v3, vcc, v6, v3, vcc
	global_store_dword v[2:3], v7, off
	v_and_or_b32 v0, v1, s6, v0
	v_cmp_ne_u32_e32 vcc, 0, v0
	v_cndmask_b32_e64 v0, 0, 1, vcc
	v_lshrrev_b32_e32 v5, 8, v1
	v_bfe_u32 v6, v1, 20, 11
	v_and_or_b32 v0, v5, s7, v0
	v_sub_u32_e32 v7, 0x3f1, v6
	v_or_b32_e32 v5, 0x1000, v0
	v_med3_i32 v7, v7, 0, 13
	v_lshrrev_b32_e32 v9, v7, v5
	v_lshlrev_b32_e32 v7, v7, v9
	v_cmp_ne_u32_e32 vcc, v7, v5
	v_cndmask_b32_e64 v5, 0, 1, vcc
	v_or_b32_e32 v5, v9, v5
	v_mul_f16_sdwa v9, v111, v12 dst_sel:DWORD dst_unused:UNUSED_PAD src0_sel:WORD_1 src1_sel:DWORD
	v_fma_f16 v8, v111, v8, -v9
	v_add_u32_e32 v7, 0xfffffc10, v6
	v_cvt_f32_f16_e32 v8, v8
	v_lshl_or_b32 v6, v7, 12, v0
	v_cmp_gt_i32_e32 vcc, 1, v7
	v_cndmask_b32_e32 v5, v6, v5, vcc
	v_and_b32_e32 v6, 7, v5
	v_cmp_lt_i32_e32 vcc, 5, v6
	v_cmp_eq_u32_e64 s[0:1], 3, v6
	v_lshrrev_b32_e32 v9, 2, v5
	v_cvt_f64_f32_e32 v[5:6], v8
	s_or_b64 vcc, s[0:1], vcc
	v_addc_co_u32_e32 v8, vcc, 0, v9, vcc
	v_mul_f64 v[5:6], v[5:6], s[2:3]
	v_cmp_gt_i32_e32 vcc, 31, v7
	v_cndmask_b32_e32 v8, v15, v8, vcc
	v_cmp_ne_u32_e32 vcc, 0, v0
	v_cndmask_b32_e64 v0, 0, 1, vcc
	v_lshl_or_b32 v0, v0, 9, v15
	v_cmp_eq_u32_e32 vcc, s10, v7
	v_cndmask_b32_e32 v0, v8, v0, vcc
	v_lshrrev_b32_e32 v1, 16, v1
	v_and_or_b32 v7, v1, s11, v0
	v_and_or_b32 v0, v6, s6, v5
	v_cmp_ne_u32_e32 vcc, 0, v0
	v_cndmask_b32_e64 v0, 0, 1, vcc
	v_lshrrev_b32_e32 v1, 8, v6
	v_bfe_u32 v5, v6, 20, 11
	v_and_or_b32 v0, v1, s7, v0
	v_sub_u32_e32 v8, 0x3f1, v5
	v_or_b32_e32 v1, 0x1000, v0
	v_med3_i32 v8, v8, 0, 13
	v_lshrrev_b32_e32 v9, v8, v1
	v_lshlrev_b32_e32 v8, v8, v9
	v_cmp_ne_u32_e32 vcc, v8, v1
	v_cndmask_b32_e64 v1, 0, 1, vcc
	v_add_u32_e32 v5, 0xfffffc10, v5
	v_or_b32_e32 v1, v9, v1
	v_lshl_or_b32 v8, v5, 12, v0
	v_cmp_gt_i32_e32 vcc, 1, v5
	v_cndmask_b32_e32 v1, v8, v1, vcc
	v_and_b32_e32 v8, 7, v1
	v_cmp_lt_i32_e32 vcc, 5, v8
	v_cmp_eq_u32_e64 s[0:1], 3, v8
	v_lshrrev_b32_e32 v8, 16, v4
	v_lshrrev_b32_e32 v1, 2, v1
	s_or_b64 vcc, s[0:1], vcc
	v_mul_f16_sdwa v9, v110, v8 dst_sel:DWORD dst_unused:UNUSED_PAD src0_sel:WORD_1 src1_sel:DWORD
	v_addc_co_u32_e32 v1, vcc, 0, v1, vcc
	v_fma_f16 v9, v110, v4, v9
	v_cmp_gt_i32_e32 vcc, 31, v5
	v_cvt_f32_f16_e32 v9, v9
	v_cndmask_b32_e32 v1, v15, v1, vcc
	v_cmp_ne_u32_e32 vcc, 0, v0
	v_cndmask_b32_e64 v0, 0, 1, vcc
	v_lshl_or_b32 v0, v0, 9, v15
	v_cmp_eq_u32_e32 vcc, s10, v5
	v_cndmask_b32_e32 v5, v1, v0, vcc
	v_cvt_f64_f32_e32 v[0:1], v9
	v_lshrrev_b32_e32 v6, 16, v6
	v_and_or_b32 v5, v6, s11, v5
	v_and_b32_e32 v6, 0xffff, v7
	v_mul_f64 v[0:1], v[0:1], s[2:3]
	v_lshl_or_b32 v5, v5, 16, v6
	v_mov_b32_e32 v6, s4
	v_add_co_u32_e32 v2, vcc, s5, v2
	v_addc_co_u32_e32 v3, vcc, v3, v6, vcc
	global_store_dword v[2:3], v5, off
	v_and_or_b32 v0, v1, s6, v0
	v_cmp_ne_u32_e32 vcc, 0, v0
	v_cndmask_b32_e64 v0, 0, 1, vcc
	v_lshrrev_b32_e32 v5, 8, v1
	v_bfe_u32 v6, v1, 20, 11
	v_and_or_b32 v0, v5, s7, v0
	v_sub_u32_e32 v7, 0x3f1, v6
	v_or_b32_e32 v5, 0x1000, v0
	v_med3_i32 v7, v7, 0, 13
	v_lshrrev_b32_e32 v9, v7, v5
	v_lshlrev_b32_e32 v7, v7, v9
	v_mul_f16_sdwa v4, v110, v4 dst_sel:DWORD dst_unused:UNUSED_PAD src0_sel:WORD_1 src1_sel:DWORD
	v_cmp_ne_u32_e32 vcc, v7, v5
	v_fma_f16 v4, v110, v8, -v4
	v_cndmask_b32_e64 v5, 0, 1, vcc
	v_add_u32_e32 v6, 0xfffffc10, v6
	v_cvt_f32_f16_e32 v4, v4
	v_or_b32_e32 v5, v9, v5
	v_lshl_or_b32 v7, v6, 12, v0
	v_cmp_gt_i32_e32 vcc, 1, v6
	v_cndmask_b32_e32 v5, v7, v5, vcc
	v_and_b32_e32 v7, 7, v5
	v_cmp_lt_i32_e32 vcc, 5, v7
	v_cmp_eq_u32_e64 s[0:1], 3, v7
	v_lshrrev_b32_e32 v7, 2, v5
	v_cvt_f64_f32_e32 v[4:5], v4
	s_or_b64 vcc, s[0:1], vcc
	v_addc_co_u32_e32 v7, vcc, 0, v7, vcc
	v_mul_f64 v[4:5], v[4:5], s[2:3]
	v_cmp_gt_i32_e32 vcc, 31, v6
	v_cndmask_b32_e32 v7, v15, v7, vcc
	v_cmp_ne_u32_e32 vcc, 0, v0
	v_cndmask_b32_e64 v0, 0, 1, vcc
	v_lshl_or_b32 v0, v0, 9, v15
	v_cmp_eq_u32_e32 vcc, s10, v6
	v_cndmask_b32_e32 v0, v7, v0, vcc
	v_lshrrev_b32_e32 v1, 16, v1
	v_and_or_b32 v6, v1, s11, v0
	v_and_or_b32 v0, v5, s6, v4
	v_cmp_ne_u32_e32 vcc, 0, v0
	v_cndmask_b32_e64 v0, 0, 1, vcc
	v_lshrrev_b32_e32 v1, 8, v5
	v_bfe_u32 v4, v5, 20, 11
	v_and_or_b32 v0, v1, s7, v0
	v_sub_u32_e32 v7, 0x3f1, v4
	v_or_b32_e32 v1, 0x1000, v0
	v_med3_i32 v7, v7, 0, 13
	v_lshrrev_b32_e32 v8, v7, v1
	v_lshlrev_b32_e32 v7, v7, v8
	v_cmp_ne_u32_e32 vcc, v7, v1
	v_cndmask_b32_e64 v1, 0, 1, vcc
	v_add_u32_e32 v4, 0xfffffc10, v4
	v_or_b32_e32 v1, v8, v1
	v_lshl_or_b32 v7, v4, 12, v0
	v_cmp_gt_i32_e32 vcc, 1, v4
	v_cndmask_b32_e32 v1, v7, v1, vcc
	v_and_b32_e32 v7, 7, v1
	v_cmp_lt_i32_e32 vcc, 5, v7
	v_cmp_eq_u32_e64 s[0:1], 3, v7
	v_lshrrev_b32_e32 v7, 16, v14
	v_lshrrev_b32_e32 v1, 2, v1
	s_or_b64 vcc, s[0:1], vcc
	v_mul_f16_sdwa v8, v109, v7 dst_sel:DWORD dst_unused:UNUSED_PAD src0_sel:WORD_1 src1_sel:DWORD
	v_addc_co_u32_e32 v1, vcc, 0, v1, vcc
	v_fma_f16 v8, v109, v14, v8
	v_cmp_gt_i32_e32 vcc, 31, v4
	v_cvt_f32_f16_e32 v8, v8
	v_cndmask_b32_e32 v1, v15, v1, vcc
	v_cmp_ne_u32_e32 vcc, 0, v0
	v_cndmask_b32_e64 v0, 0, 1, vcc
	v_lshl_or_b32 v0, v0, 9, v15
	v_cmp_eq_u32_e32 vcc, s10, v4
	v_cndmask_b32_e32 v4, v1, v0, vcc
	v_cvt_f64_f32_e32 v[0:1], v8
	v_lshrrev_b32_e32 v5, 16, v5
	v_and_or_b32 v4, v5, s11, v4
	v_and_b32_e32 v5, 0xffff, v6
	v_mul_f64 v[0:1], v[0:1], s[2:3]
	v_lshl_or_b32 v4, v4, 16, v5
	v_mov_b32_e32 v5, s4
	v_add_co_u32_e32 v2, vcc, s5, v2
	v_addc_co_u32_e32 v3, vcc, v3, v5, vcc
	global_store_dword v[2:3], v4, off
	v_and_or_b32 v0, v1, s6, v0
	v_cmp_ne_u32_e32 vcc, 0, v0
	v_cndmask_b32_e64 v0, 0, 1, vcc
	v_lshrrev_b32_e32 v4, 8, v1
	v_bfe_u32 v5, v1, 20, 11
	v_and_or_b32 v0, v4, s7, v0
	v_sub_u32_e32 v6, 0x3f1, v5
	v_or_b32_e32 v4, 0x1000, v0
	v_med3_i32 v6, v6, 0, 13
	v_lshrrev_b32_e32 v8, v6, v4
	v_lshlrev_b32_e32 v6, v6, v8
	v_cmp_ne_u32_e32 vcc, v6, v4
	v_cndmask_b32_e64 v4, 0, 1, vcc
	v_or_b32_e32 v4, v8, v4
	v_mul_f16_sdwa v8, v109, v14 dst_sel:DWORD dst_unused:UNUSED_PAD src0_sel:WORD_1 src1_sel:DWORD
	v_fma_f16 v7, v109, v7, -v8
	v_add_u32_e32 v6, 0xfffffc10, v5
	v_cvt_f32_f16_e32 v7, v7
	v_lshl_or_b32 v5, v6, 12, v0
	v_cmp_gt_i32_e32 vcc, 1, v6
	v_cndmask_b32_e32 v4, v5, v4, vcc
	v_and_b32_e32 v5, 7, v4
	v_cmp_lt_i32_e32 vcc, 5, v5
	v_cmp_eq_u32_e64 s[0:1], 3, v5
	v_lshrrev_b32_e32 v8, 2, v4
	v_cvt_f64_f32_e32 v[4:5], v7
	s_or_b64 vcc, s[0:1], vcc
	v_addc_co_u32_e32 v7, vcc, 0, v8, vcc
	v_mul_f64 v[4:5], v[4:5], s[2:3]
	v_cmp_gt_i32_e32 vcc, 31, v6
	v_cndmask_b32_e32 v7, v15, v7, vcc
	v_cmp_ne_u32_e32 vcc, 0, v0
	v_cndmask_b32_e64 v0, 0, 1, vcc
	v_lshl_or_b32 v0, v0, 9, v15
	v_cmp_eq_u32_e32 vcc, s10, v6
	v_cndmask_b32_e32 v0, v7, v0, vcc
	v_lshrrev_b32_e32 v1, 16, v1
	v_and_or_b32 v0, v1, s11, v0
	v_and_or_b32 v1, v5, s6, v4
	v_cmp_ne_u32_e32 vcc, 0, v1
	v_cndmask_b32_e64 v1, 0, 1, vcc
	v_lshrrev_b32_e32 v4, 8, v5
	v_bfe_u32 v6, v5, 20, 11
	v_and_or_b32 v1, v4, s7, v1
	v_sub_u32_e32 v7, 0x3f1, v6
	v_or_b32_e32 v4, 0x1000, v1
	v_med3_i32 v7, v7, 0, 13
	v_lshrrev_b32_e32 v8, v7, v4
	v_lshlrev_b32_e32 v7, v7, v8
	v_cmp_ne_u32_e32 vcc, v7, v4
	v_cndmask_b32_e64 v4, 0, 1, vcc
	v_add_u32_e32 v6, 0xfffffc10, v6
	v_or_b32_e32 v4, v8, v4
	v_lshl_or_b32 v7, v6, 12, v1
	v_cmp_gt_i32_e32 vcc, 1, v6
	v_cndmask_b32_e32 v4, v7, v4, vcc
	v_and_b32_e32 v7, 7, v4
	v_cmp_lt_i32_e32 vcc, 5, v7
	v_cmp_eq_u32_e64 s[0:1], 3, v7
	v_lshrrev_b32_e32 v4, 2, v4
	s_or_b64 vcc, s[0:1], vcc
	v_addc_co_u32_e32 v4, vcc, 0, v4, vcc
	v_cmp_gt_i32_e32 vcc, 31, v6
	v_cndmask_b32_e32 v4, v15, v4, vcc
	v_cmp_ne_u32_e32 vcc, 0, v1
	v_cndmask_b32_e64 v1, 0, 1, vcc
	v_lshl_or_b32 v1, v1, 9, v15
	v_cmp_eq_u32_e32 vcc, s10, v6
	v_cndmask_b32_e32 v1, v4, v1, vcc
	v_lshrrev_b32_e32 v4, 16, v5
	v_and_or_b32 v1, v4, s11, v1
	v_and_b32_e32 v0, 0xffff, v0
	v_lshl_or_b32 v4, v1, 16, v0
	v_mov_b32_e32 v1, s4
	v_add_co_u32_e32 v0, vcc, s5, v2
	v_addc_co_u32_e32 v1, vcc, v3, v1, vcc
	global_store_dword v[0:1], v4, off
.LBB0_2:
	s_endpgm
	.section	.rodata,"a",@progbits
	.p2align	6, 0x0
	.amdhsa_kernel bluestein_single_back_len4050_dim1_half_op_CI_CI
		.amdhsa_group_segment_fixed_size 16200
		.amdhsa_private_segment_fixed_size 0
		.amdhsa_kernarg_size 104
		.amdhsa_user_sgpr_count 6
		.amdhsa_user_sgpr_private_segment_buffer 1
		.amdhsa_user_sgpr_dispatch_ptr 0
		.amdhsa_user_sgpr_queue_ptr 0
		.amdhsa_user_sgpr_kernarg_segment_ptr 1
		.amdhsa_user_sgpr_dispatch_id 0
		.amdhsa_user_sgpr_flat_scratch_init 0
		.amdhsa_user_sgpr_private_segment_size 0
		.amdhsa_uses_dynamic_stack 0
		.amdhsa_system_sgpr_private_segment_wavefront_offset 0
		.amdhsa_system_sgpr_workgroup_id_x 1
		.amdhsa_system_sgpr_workgroup_id_y 0
		.amdhsa_system_sgpr_workgroup_id_z 0
		.amdhsa_system_sgpr_workgroup_info 0
		.amdhsa_system_vgpr_workitem_id 0
		.amdhsa_next_free_vgpr 254
		.amdhsa_next_free_sgpr 21
		.amdhsa_reserve_vcc 1
		.amdhsa_reserve_flat_scratch 0
		.amdhsa_float_round_mode_32 0
		.amdhsa_float_round_mode_16_64 0
		.amdhsa_float_denorm_mode_32 3
		.amdhsa_float_denorm_mode_16_64 3
		.amdhsa_dx10_clamp 1
		.amdhsa_ieee_mode 1
		.amdhsa_fp16_overflow 0
		.amdhsa_exception_fp_ieee_invalid_op 0
		.amdhsa_exception_fp_denorm_src 0
		.amdhsa_exception_fp_ieee_div_zero 0
		.amdhsa_exception_fp_ieee_overflow 0
		.amdhsa_exception_fp_ieee_underflow 0
		.amdhsa_exception_fp_ieee_inexact 0
		.amdhsa_exception_int_div_zero 0
	.end_amdhsa_kernel
	.text
.Lfunc_end0:
	.size	bluestein_single_back_len4050_dim1_half_op_CI_CI, .Lfunc_end0-bluestein_single_back_len4050_dim1_half_op_CI_CI
                                        ; -- End function
	.section	.AMDGPU.csdata,"",@progbits
; Kernel info:
; codeLenInByte = 52636
; NumSgprs: 25
; NumVgprs: 254
; ScratchSize: 0
; MemoryBound: 0
; FloatMode: 240
; IeeeMode: 1
; LDSByteSize: 16200 bytes/workgroup (compile time only)
; SGPRBlocks: 3
; VGPRBlocks: 63
; NumSGPRsForWavesPerEU: 25
; NumVGPRsForWavesPerEU: 254
; Occupancy: 1
; WaveLimiterHint : 1
; COMPUTE_PGM_RSRC2:SCRATCH_EN: 0
; COMPUTE_PGM_RSRC2:USER_SGPR: 6
; COMPUTE_PGM_RSRC2:TRAP_HANDLER: 0
; COMPUTE_PGM_RSRC2:TGID_X_EN: 1
; COMPUTE_PGM_RSRC2:TGID_Y_EN: 0
; COMPUTE_PGM_RSRC2:TGID_Z_EN: 0
; COMPUTE_PGM_RSRC2:TIDIG_COMP_CNT: 0
	.type	__hip_cuid_8a8acbd1c99195ab,@object ; @__hip_cuid_8a8acbd1c99195ab
	.section	.bss,"aw",@nobits
	.globl	__hip_cuid_8a8acbd1c99195ab
__hip_cuid_8a8acbd1c99195ab:
	.byte	0                               ; 0x0
	.size	__hip_cuid_8a8acbd1c99195ab, 1

	.ident	"AMD clang version 19.0.0git (https://github.com/RadeonOpenCompute/llvm-project roc-6.4.0 25133 c7fe45cf4b819c5991fe208aaa96edf142730f1d)"
	.section	".note.GNU-stack","",@progbits
	.addrsig
	.addrsig_sym __hip_cuid_8a8acbd1c99195ab
	.amdgpu_metadata
---
amdhsa.kernels:
  - .args:
      - .actual_access:  read_only
        .address_space:  global
        .offset:         0
        .size:           8
        .value_kind:     global_buffer
      - .actual_access:  read_only
        .address_space:  global
        .offset:         8
        .size:           8
        .value_kind:     global_buffer
      - .actual_access:  read_only
        .address_space:  global
        .offset:         16
        .size:           8
        .value_kind:     global_buffer
      - .actual_access:  read_only
        .address_space:  global
        .offset:         24
        .size:           8
        .value_kind:     global_buffer
      - .actual_access:  read_only
        .address_space:  global
        .offset:         32
        .size:           8
        .value_kind:     global_buffer
      - .offset:         40
        .size:           8
        .value_kind:     by_value
      - .address_space:  global
        .offset:         48
        .size:           8
        .value_kind:     global_buffer
      - .address_space:  global
        .offset:         56
        .size:           8
        .value_kind:     global_buffer
      - .address_space:  global
        .offset:         64
        .size:           8
        .value_kind:     global_buffer
      - .address_space:  global
        .offset:         72
        .size:           8
        .value_kind:     global_buffer
      - .offset:         80
        .size:           4
        .value_kind:     by_value
      - .address_space:  global
        .offset:         88
        .size:           8
        .value_kind:     global_buffer
      - .address_space:  global
        .offset:         96
        .size:           8
        .value_kind:     global_buffer
    .group_segment_fixed_size: 16200
    .kernarg_segment_align: 8
    .kernarg_segment_size: 104
    .language:       OpenCL C
    .language_version:
      - 2
      - 0
    .max_flat_workgroup_size: 135
    .name:           bluestein_single_back_len4050_dim1_half_op_CI_CI
    .private_segment_fixed_size: 0
    .sgpr_count:     25
    .sgpr_spill_count: 0
    .symbol:         bluestein_single_back_len4050_dim1_half_op_CI_CI.kd
    .uniform_work_group_size: 1
    .uses_dynamic_stack: false
    .vgpr_count:     254
    .vgpr_spill_count: 0
    .wavefront_size: 64
amdhsa.target:   amdgcn-amd-amdhsa--gfx906
amdhsa.version:
  - 1
  - 2
...

	.end_amdgpu_metadata
